;; amdgpu-corpus repo=ROCm/rocFFT kind=compiled arch=gfx950 opt=O3
	.text
	.amdgcn_target "amdgcn-amd-amdhsa--gfx950"
	.amdhsa_code_object_version 6
	.protected	fft_rtc_fwd_len1260_factors_2_2_3_3_5_7_wgs_63_tpt_63_halfLds_dp_op_CI_CI_sbrr_dirReg ; -- Begin function fft_rtc_fwd_len1260_factors_2_2_3_3_5_7_wgs_63_tpt_63_halfLds_dp_op_CI_CI_sbrr_dirReg
	.globl	fft_rtc_fwd_len1260_factors_2_2_3_3_5_7_wgs_63_tpt_63_halfLds_dp_op_CI_CI_sbrr_dirReg
	.p2align	8
	.type	fft_rtc_fwd_len1260_factors_2_2_3_3_5_7_wgs_63_tpt_63_halfLds_dp_op_CI_CI_sbrr_dirReg,@function
fft_rtc_fwd_len1260_factors_2_2_3_3_5_7_wgs_63_tpt_63_halfLds_dp_op_CI_CI_sbrr_dirReg: ; @fft_rtc_fwd_len1260_factors_2_2_3_3_5_7_wgs_63_tpt_63_halfLds_dp_op_CI_CI_sbrr_dirReg
; %bb.0:
	s_load_dwordx4 s[12:15], s[0:1], 0x18
	s_load_dwordx4 s[4:7], s[0:1], 0x0
	;; [unrolled: 1-line block ×3, first 2 shown]
	v_mul_u32_u24_e32 v1, 0x411, v0
	v_add_u32_sdwa v6, s2, v1 dst_sel:DWORD dst_unused:UNUSED_PAD src0_sel:DWORD src1_sel:WORD_1
	s_waitcnt lgkmcnt(0)
	s_load_dwordx2 s[18:19], s[12:13], 0x0
	s_load_dwordx2 s[16:17], s[14:15], 0x0
	v_mov_b32_e32 v2, 0
	v_cmp_lt_u64_e64 s[2:3], s[6:7], 2
	v_mov_b32_e32 v7, v2
	s_and_b64 vcc, exec, s[2:3]
	v_mov_b64_e32 v[4:5], 0
	s_cbranch_vccnz .LBB0_8
; %bb.1:
	s_load_dwordx2 s[2:3], s[0:1], 0x10
	s_add_u32 s20, s14, 8
	s_addc_u32 s21, s15, 0
	s_add_u32 s22, s12, 8
	s_addc_u32 s23, s13, 0
	s_waitcnt lgkmcnt(0)
	s_add_u32 s24, s2, 8
	v_mov_b64_e32 v[4:5], 0
	s_addc_u32 s25, s3, 0
	s_mov_b64 s[26:27], 1
	v_mov_b64_e32 v[100:101], v[4:5]
.LBB0_2:                                ; =>This Inner Loop Header: Depth=1
	s_load_dwordx2 s[28:29], s[24:25], 0x0
                                        ; implicit-def: $vgpr96_vgpr97
	s_waitcnt lgkmcnt(0)
	v_or_b32_e32 v3, s29, v7
	v_cmp_ne_u64_e32 vcc, 0, v[2:3]
	s_and_saveexec_b64 s[2:3], vcc
	s_xor_b64 s[30:31], exec, s[2:3]
	s_cbranch_execz .LBB0_4
; %bb.3:                                ;   in Loop: Header=BB0_2 Depth=1
	v_cvt_f32_u32_e32 v1, s28
	v_cvt_f32_u32_e32 v3, s29
	s_sub_u32 s2, 0, s28
	s_subb_u32 s3, 0, s29
	v_fmac_f32_e32 v1, 0x4f800000, v3
	v_rcp_f32_e32 v1, v1
	s_nop 0
	v_mul_f32_e32 v1, 0x5f7ffffc, v1
	v_mul_f32_e32 v3, 0x2f800000, v1
	v_trunc_f32_e32 v3, v3
	v_fmac_f32_e32 v1, 0xcf800000, v3
	v_cvt_u32_f32_e32 v3, v3
	v_cvt_u32_f32_e32 v1, v1
	v_mul_lo_u32 v8, s2, v3
	v_mul_hi_u32 v10, s2, v1
	v_mul_lo_u32 v9, s3, v1
	v_add_u32_e32 v10, v10, v8
	v_mul_lo_u32 v12, s2, v1
	v_add_u32_e32 v13, v10, v9
	v_mul_hi_u32 v8, v1, v12
	v_mul_hi_u32 v11, v1, v13
	v_mul_lo_u32 v10, v1, v13
	v_mov_b32_e32 v9, v2
	v_lshl_add_u64 v[8:9], v[8:9], 0, v[10:11]
	v_mul_hi_u32 v11, v3, v12
	v_mul_lo_u32 v12, v3, v12
	v_add_co_u32_e32 v8, vcc, v8, v12
	v_mul_hi_u32 v10, v3, v13
	s_nop 0
	v_addc_co_u32_e32 v8, vcc, v9, v11, vcc
	v_mov_b32_e32 v9, v2
	s_nop 0
	v_addc_co_u32_e32 v11, vcc, 0, v10, vcc
	v_mul_lo_u32 v10, v3, v13
	v_lshl_add_u64 v[8:9], v[8:9], 0, v[10:11]
	v_add_co_u32_e32 v1, vcc, v1, v8
	v_mul_lo_u32 v10, s2, v1
	s_nop 0
	v_addc_co_u32_e32 v3, vcc, v3, v9, vcc
	v_mul_lo_u32 v8, s2, v3
	v_mul_hi_u32 v9, s2, v1
	v_add_u32_e32 v8, v9, v8
	v_mul_lo_u32 v9, s3, v1
	v_add_u32_e32 v12, v8, v9
	v_mul_hi_u32 v14, v3, v10
	v_mul_lo_u32 v15, v3, v10
	v_mul_hi_u32 v9, v1, v12
	v_mul_lo_u32 v8, v1, v12
	v_mul_hi_u32 v10, v1, v10
	v_mov_b32_e32 v11, v2
	v_lshl_add_u64 v[8:9], v[10:11], 0, v[8:9]
	v_add_co_u32_e32 v8, vcc, v8, v15
	v_mul_hi_u32 v13, v3, v12
	s_nop 0
	v_addc_co_u32_e32 v8, vcc, v9, v14, vcc
	v_mul_lo_u32 v10, v3, v12
	s_nop 0
	v_addc_co_u32_e32 v11, vcc, 0, v13, vcc
	v_mov_b32_e32 v9, v2
	v_lshl_add_u64 v[8:9], v[8:9], 0, v[10:11]
	v_add_co_u32_e32 v1, vcc, v1, v8
	v_mul_hi_u32 v10, v6, v1
	s_nop 0
	v_addc_co_u32_e32 v3, vcc, v3, v9, vcc
	v_mad_u64_u32 v[8:9], s[2:3], v6, v3, 0
	v_mov_b32_e32 v11, v2
	v_lshl_add_u64 v[8:9], v[10:11], 0, v[8:9]
	v_mad_u64_u32 v[12:13], s[2:3], v7, v1, 0
	v_add_co_u32_e32 v1, vcc, v8, v12
	v_mad_u64_u32 v[10:11], s[2:3], v7, v3, 0
	s_nop 0
	v_addc_co_u32_e32 v8, vcc, v9, v13, vcc
	v_mov_b32_e32 v9, v2
	s_nop 0
	v_addc_co_u32_e32 v11, vcc, 0, v11, vcc
	v_lshl_add_u64 v[8:9], v[8:9], 0, v[10:11]
	v_mul_lo_u32 v1, s29, v8
	v_mul_lo_u32 v3, s28, v9
	v_mad_u64_u32 v[10:11], s[2:3], s28, v8, 0
	v_add3_u32 v1, v11, v3, v1
	v_sub_u32_e32 v3, v7, v1
	v_mov_b32_e32 v11, s29
	v_sub_co_u32_e32 v14, vcc, v6, v10
	v_lshl_add_u64 v[12:13], v[8:9], 0, 1
	s_nop 0
	v_subb_co_u32_e64 v3, s[2:3], v3, v11, vcc
	v_subrev_co_u32_e64 v10, s[2:3], s28, v14
	v_subb_co_u32_e32 v1, vcc, v7, v1, vcc
	s_nop 0
	v_subbrev_co_u32_e64 v3, s[2:3], 0, v3, s[2:3]
	v_cmp_le_u32_e64 s[2:3], s29, v3
	v_cmp_le_u32_e32 vcc, s29, v1
	s_nop 0
	v_cndmask_b32_e64 v11, 0, -1, s[2:3]
	v_cmp_le_u32_e64 s[2:3], s28, v10
	s_nop 1
	v_cndmask_b32_e64 v10, 0, -1, s[2:3]
	v_cmp_eq_u32_e64 s[2:3], s29, v3
	s_nop 1
	v_cndmask_b32_e64 v3, v11, v10, s[2:3]
	v_lshl_add_u64 v[10:11], v[8:9], 0, 2
	v_cmp_ne_u32_e64 s[2:3], 0, v3
	s_nop 1
	v_cndmask_b32_e64 v3, v13, v11, s[2:3]
	v_cndmask_b32_e64 v11, 0, -1, vcc
	v_cmp_le_u32_e32 vcc, s28, v14
	s_nop 1
	v_cndmask_b32_e64 v13, 0, -1, vcc
	v_cmp_eq_u32_e32 vcc, s29, v1
	s_nop 1
	v_cndmask_b32_e32 v1, v11, v13, vcc
	v_cmp_ne_u32_e32 vcc, 0, v1
	v_cndmask_b32_e64 v1, v12, v10, s[2:3]
	s_nop 0
	v_cndmask_b32_e32 v97, v9, v3, vcc
	v_cndmask_b32_e32 v96, v8, v1, vcc
.LBB0_4:                                ;   in Loop: Header=BB0_2 Depth=1
	s_andn2_saveexec_b64 s[2:3], s[30:31]
	s_cbranch_execz .LBB0_6
; %bb.5:                                ;   in Loop: Header=BB0_2 Depth=1
	v_cvt_f32_u32_e32 v1, s28
	s_sub_i32 s30, 0, s28
	v_mov_b32_e32 v97, v2
	v_rcp_iflag_f32_e32 v1, v1
	s_nop 0
	v_mul_f32_e32 v1, 0x4f7ffffe, v1
	v_cvt_u32_f32_e32 v1, v1
	v_mul_lo_u32 v3, s30, v1
	v_mul_hi_u32 v3, v1, v3
	v_add_u32_e32 v1, v1, v3
	v_mul_hi_u32 v1, v6, v1
	v_mul_lo_u32 v3, v1, s28
	v_sub_u32_e32 v3, v6, v3
	v_add_u32_e32 v8, 1, v1
	v_subrev_u32_e32 v9, s28, v3
	v_cmp_le_u32_e32 vcc, s28, v3
	s_nop 1
	v_cndmask_b32_e32 v3, v3, v9, vcc
	v_cndmask_b32_e32 v1, v1, v8, vcc
	v_add_u32_e32 v8, 1, v1
	v_cmp_le_u32_e32 vcc, s28, v3
	s_nop 1
	v_cndmask_b32_e32 v96, v1, v8, vcc
.LBB0_6:                                ;   in Loop: Header=BB0_2 Depth=1
	s_or_b64 exec, exec, s[2:3]
	v_mad_u64_u32 v[8:9], s[2:3], v96, s28, 0
	s_load_dwordx2 s[2:3], s[22:23], 0x0
	v_mul_lo_u32 v1, v97, s28
	v_mul_lo_u32 v3, v96, s29
	s_load_dwordx2 s[28:29], s[20:21], 0x0
	s_add_u32 s26, s26, 1
	v_add3_u32 v1, v9, v3, v1
	v_sub_co_u32_e32 v3, vcc, v6, v8
	s_addc_u32 s27, s27, 0
	s_nop 0
	v_subb_co_u32_e32 v1, vcc, v7, v1, vcc
	s_add_u32 s20, s20, 8
	s_waitcnt lgkmcnt(0)
	v_mul_lo_u32 v6, s2, v1
	v_mul_lo_u32 v7, s3, v3
	v_mad_u64_u32 v[4:5], s[2:3], s2, v3, v[4:5]
	s_addc_u32 s21, s21, 0
	v_add3_u32 v5, v7, v5, v6
	v_mul_lo_u32 v1, s28, v1
	v_mul_lo_u32 v6, s29, v3
	v_mad_u64_u32 v[100:101], s[2:3], s28, v3, v[100:101]
	s_add_u32 s22, s22, 8
	v_add3_u32 v101, v6, v101, v1
	s_addc_u32 s23, s23, 0
	v_mov_b64_e32 v[6:7], s[6:7]
	s_add_u32 s24, s24, 8
	v_cmp_ge_u64_e32 vcc, s[26:27], v[6:7]
	s_addc_u32 s25, s25, 0
	s_cbranch_vccnz .LBB0_9
; %bb.7:                                ;   in Loop: Header=BB0_2 Depth=1
	v_mov_b64_e32 v[6:7], v[96:97]
	s_branch .LBB0_2
.LBB0_8:
	v_mov_b64_e32 v[100:101], v[4:5]
	v_mov_b64_e32 v[96:97], v[6:7]
.LBB0_9:
	s_load_dwordx2 s[0:1], s[0:1], 0x28
	s_lshl_b64 s[6:7], s[6:7], 3
	s_add_u32 s2, s14, s6
	s_addc_u32 s3, s15, s7
                                        ; implicit-def: $vgpr98_vgpr99
                                        ; implicit-def: $vgpr132
                                        ; implicit-def: $vgpr134
                                        ; implicit-def: $vgpr133
                                        ; implicit-def: $vgpr135
                                        ; implicit-def: $vgpr137
                                        ; implicit-def: $vgpr106
                                        ; implicit-def: $vgpr107
                                        ; implicit-def: $vgpr108
	s_waitcnt lgkmcnt(0)
	v_cmp_gt_u64_e32 vcc, s[0:1], v[96:97]
	v_cmp_le_u64_e64 s[0:1], s[0:1], v[96:97]
	s_and_saveexec_b64 s[14:15], s[0:1]
	s_xor_b64 s[0:1], exec, s[14:15]
	s_cbranch_execz .LBB0_11
; %bb.10:
	s_mov_b32 s14, 0x4104105
	v_mul_hi_u32 v1, v0, s14
	v_mul_u32_u24_e32 v1, 63, v1
	v_sub_u32_e32 v132, v0, v1
	v_add_u32_e32 v134, 63, v132
	v_add_u32_e32 v133, 0x7e, v132
	;; [unrolled: 1-line block ×9, first 2 shown]
                                        ; implicit-def: $vgpr0
                                        ; implicit-def: $vgpr4_vgpr5
.LBB0_11:
	s_or_saveexec_b64 s[0:1], s[0:1]
                                        ; implicit-def: $vgpr10_vgpr11
                                        ; implicit-def: $vgpr6_vgpr7
                                        ; implicit-def: $vgpr14_vgpr15
                                        ; implicit-def: $vgpr2_vgpr3
                                        ; implicit-def: $vgpr22_vgpr23
                                        ; implicit-def: $vgpr18_vgpr19
                                        ; implicit-def: $vgpr30_vgpr31
                                        ; implicit-def: $vgpr26_vgpr27
                                        ; implicit-def: $vgpr38_vgpr39
                                        ; implicit-def: $vgpr34_vgpr35
                                        ; implicit-def: $vgpr42_vgpr43
                                        ; implicit-def: $vgpr46_vgpr47
                                        ; implicit-def: $vgpr54_vgpr55
                                        ; implicit-def: $vgpr50_vgpr51
                                        ; implicit-def: $vgpr62_vgpr63
                                        ; implicit-def: $vgpr58_vgpr59
                                        ; implicit-def: $vgpr70_vgpr71
                                        ; implicit-def: $vgpr66_vgpr67
                                        ; implicit-def: $vgpr78_vgpr79
                                        ; implicit-def: $vgpr74_vgpr75
	s_xor_b64 exec, exec, s[0:1]
	s_cbranch_execz .LBB0_13
; %bb.12:
	s_add_u32 s6, s12, s6
	s_addc_u32 s7, s13, s7
	s_load_dwordx2 s[6:7], s[6:7], 0x0
	s_mov_b32 s12, 0x4104105
	s_waitcnt lgkmcnt(0)
	v_mul_lo_u32 v1, s7, v96
	v_mul_lo_u32 v6, s6, v97
	v_mad_u64_u32 v[2:3], s[6:7], s6, v96, 0
	v_add3_u32 v3, v3, v6, v1
	v_mul_hi_u32 v1, v0, s12
	v_mul_u32_u24_e32 v1, 63, v1
	v_sub_u32_e32 v132, v0, v1
	v_mad_u64_u32 v[6:7], s[6:7], s18, v132, 0
	v_mov_b32_e32 v0, v7
	v_mad_u64_u32 v[0:1], s[6:7], s19, v132, v[0:1]
	v_mov_b32_e32 v7, v0
	v_lshl_add_u64 v[0:1], v[2:3], 4, s[8:9]
	v_lshl_add_u64 v[0:1], v[4:5], 4, v[0:1]
	;; [unrolled: 1-line block ×3, first 2 shown]
	v_add_u32_e32 v7, 0x276, v132
	v_mad_u64_u32 v[4:5], s[6:7], s18, v7, 0
	v_mov_b32_e32 v6, v5
	v_mad_u64_u32 v[6:7], s[6:7], s19, v7, v[6:7]
	v_add_u32_e32 v134, 63, v132
	v_mov_b32_e32 v5, v6
	v_mad_u64_u32 v[6:7], s[6:7], s18, v134, 0
	v_mov_b32_e32 v8, v7
	v_mad_u64_u32 v[8:9], s[6:7], s19, v134, v[8:9]
	v_add_u32_e32 v11, 0x2b5, v132
	v_mov_b32_e32 v7, v8
	v_mad_u64_u32 v[8:9], s[6:7], s18, v11, 0
	v_mov_b32_e32 v10, v9
	v_mad_u64_u32 v[10:11], s[6:7], s19, v11, v[10:11]
	v_add_u32_e32 v133, 0x7e, v132
	v_mov_b32_e32 v9, v10
	v_mad_u64_u32 v[10:11], s[6:7], s18, v133, 0
	v_mov_b32_e32 v12, v11
	v_mad_u64_u32 v[12:13], s[6:7], s19, v133, v[12:13]
	v_add_u32_e32 v15, 0x2f4, v132
	v_mov_b32_e32 v11, v12
	v_mad_u64_u32 v[12:13], s[6:7], s18, v15, 0
	v_mov_b32_e32 v14, v13
	v_mad_u64_u32 v[14:15], s[6:7], s19, v15, v[14:15]
	v_add_u32_e32 v135, 0xbd, v132
	v_mov_b32_e32 v13, v14
	v_mad_u64_u32 v[14:15], s[6:7], s18, v135, 0
	v_mov_b32_e32 v16, v15
	v_mad_u64_u32 v[16:17], s[6:7], s19, v135, v[16:17]
	v_add_u32_e32 v19, 0x333, v132
	v_mov_b32_e32 v15, v16
	v_mad_u64_u32 v[16:17], s[6:7], s18, v19, 0
	v_mov_b32_e32 v18, v17
	v_mad_u64_u32 v[18:19], s[6:7], s19, v19, v[18:19]
	v_add_u32_e32 v21, 0x372, v132
	v_mov_b32_e32 v17, v18
	v_mad_u64_u32 v[18:19], s[6:7], s18, v21, 0
	v_mov_b32_e32 v20, v19
	v_mad_u64_u32 v[20:21], s[6:7], s19, v21, v[20:21]
	v_add_u32_e32 v98, 0xfc, v132
	v_mov_b32_e32 v19, v20
	v_mad_u64_u32 v[20:21], s[6:7], s18, v98, 0
	v_mov_b32_e32 v22, v21
	v_add_u32_e32 v99, 0x13b, v132
	v_mad_u64_u32 v[22:23], s[6:7], s19, v98, v[22:23]
	v_mov_b32_e32 v21, v22
	v_mad_u64_u32 v[22:23], s[6:7], s18, v99, 0
	v_mov_b32_e32 v24, v23
	v_mad_u64_u32 v[24:25], s[6:7], s19, v99, v[24:25]
	v_add_u32_e32 v27, 0x3b1, v132
	v_mov_b32_e32 v23, v24
	v_mad_u64_u32 v[24:25], s[6:7], s18, v27, 0
	v_mov_b32_e32 v26, v25
	v_mad_u64_u32 v[26:27], s[6:7], s19, v27, v[26:27]
	v_add_u32_e32 v137, 0x17a, v132
	;; [unrolled: 5-line block ×9, first 2 shown]
	v_mov_b32_e32 v39, v40
	v_mad_u64_u32 v[40:41], s[6:7], s18, v43, 0
	v_mov_b32_e32 v42, v41
	v_lshl_add_u64 v[4:5], v[4:5], 4, v[0:1]
	v_mad_u64_u32 v[42:43], s[6:7], s19, v43, v[42:43]
	global_load_dwordx4 v[72:75], v[2:3], off
	global_load_dwordx4 v[76:79], v[4:5], off
	v_lshl_add_u64 v[4:5], v[6:7], 4, v[0:1]
	v_lshl_add_u64 v[6:7], v[8:9], 4, v[0:1]
	;; [unrolled: 1-line block ×6, first 2 shown]
	v_mov_b32_e32 v41, v42
	v_lshl_add_u64 v[80:81], v[18:19], 4, v[0:1]
	v_lshl_add_u64 v[82:83], v[20:21], 4, v[0:1]
	;; [unrolled: 1-line block ×12, first 2 shown]
	global_load_dwordx4 v[64:67], v[4:5], off
	global_load_dwordx4 v[68:71], v[6:7], off
	;; [unrolled: 1-line block ×15, first 2 shown]
                                        ; kill: killed $vgpr102_vgpr103
                                        ; kill: killed $vgpr92_vgpr93
                                        ; kill: killed $vgpr88_vgpr89
                                        ; kill: killed $vgpr84_vgpr85
                                        ; kill: killed $vgpr80_vgpr81
                                        ; kill: killed $vgpr82_vgpr83
                                        ; kill: killed $vgpr14_vgpr15
                                        ; kill: killed $vgpr10_vgpr11
                                        ; kill: killed $vgpr6_vgpr7
                                        ; kill: killed $vgpr12_vgpr13
                                        ; kill: killed $vgpr8_vgpr9
                                        ; kill: killed $vgpr4_vgpr5
                                        ; kill: killed $vgpr94_vgpr95
                                        ; kill: killed $vgpr90_vgpr91
                                        ; kill: killed $vgpr86_vgpr87
	global_load_dwordx4 v[12:15], v[104:105], off
	global_load_dwordx4 v[4:7], v[110:111], off
	;; [unrolled: 1-line block ×3, first 2 shown]
.LBB0_13:
	s_or_b64 exec, exec, s[0:1]
	s_waitcnt vmcnt(18)
	v_add_f64 v[94:95], v[74:75], -v[78:79]
	v_add_f64 v[80:81], v[72:73], -v[76:77]
	v_fma_f64 v[92:93], v[74:75], 2.0, -v[94:95]
	s_waitcnt vmcnt(16)
	v_add_f64 v[74:75], v[64:65], -v[68:69]
	v_fma_f64 v[78:79], v[72:73], 2.0, -v[80:81]
	v_lshl_add_u32 v109, v132, 4, 0
	v_fma_f64 v[72:73], v[64:65], 2.0, -v[74:75]
	v_lshl_add_u32 v139, v134, 4, 0
	ds_write_b128 v109, v[78:81]
	ds_write_b128 v139, v[72:75]
	s_waitcnt vmcnt(14)
	v_add_f64 v[74:75], v[56:57], -v[60:61]
	v_fma_f64 v[72:73], v[56:57], 2.0, -v[74:75]
	v_lshl_add_u32 v140, v133, 4, 0
	ds_write_b128 v140, v[72:75]
	s_waitcnt vmcnt(12)
	v_add_f64 v[74:75], v[48:49], -v[52:53]
	v_fma_f64 v[72:73], v[48:49], 2.0, -v[74:75]
	v_lshl_add_u32 v143, v135, 4, 0
	ds_write_b128 v143, v[72:75]
	s_waitcnt vmcnt(10)
	v_add_f64 v[74:75], v[44:45], -v[40:41]
	v_fma_f64 v[72:73], v[44:45], 2.0, -v[74:75]
	v_lshl_add_u32 v144, v98, 4, 0
	ds_write_b128 v144, v[72:75]
	s_waitcnt vmcnt(8)
	v_add_f64 v[74:75], v[32:33], -v[36:37]
	v_fma_f64 v[72:73], v[32:33], 2.0, -v[74:75]
	v_lshl_add_u32 v145, v99, 4, 0
	ds_write_b128 v145, v[72:75]
	s_waitcnt vmcnt(6)
	v_add_f64 v[74:75], v[24:25], -v[28:29]
	v_fma_f64 v[72:73], v[24:25], 2.0, -v[74:75]
	v_lshl_add_u32 v110, v137, 4, 0
	ds_write_b128 v110, v[72:75]
	s_waitcnt vmcnt(4)
	v_add_f64 v[74:75], v[16:17], -v[20:21]
	v_fma_f64 v[72:73], v[16:17], 2.0, -v[74:75]
	v_lshl_add_u32 v24, v106, 4, 0
	ds_write_b128 v24, v[72:75]
	s_waitcnt vmcnt(2)
	v_add_f64 v[74:75], v[0:1], -v[12:13]
	v_fma_f64 v[72:73], v[0:1], 2.0, -v[74:75]
	v_lshl_add_u32 v138, v107, 4, 0
	v_lshlrev_b32_e32 v0, 3, v132
	ds_write_b128 v138, v[72:75]
	s_waitcnt vmcnt(0)
	v_add_f64 v[74:75], v[4:5], -v[8:9]
	v_sub_u32_e32 v136, v109, v0
	v_lshlrev_b32_e32 v0, 3, v106
	v_fma_f64 v[72:73], v[4:5], 2.0, -v[74:75]
	v_lshl_add_u32 v25, v108, 4, 0
	v_sub_u32_e32 v64, v24, v0
	v_lshlrev_b32_e32 v0, 3, v108
	v_lshlrev_b32_e32 v111, 3, v134
	;; [unrolled: 1-line block ×8, first 2 shown]
	ds_write_b128 v25, v[72:75]
	s_load_dwordx2 s[2:3], s[2:3], 0x0
	s_waitcnt lgkmcnt(0)
	; wave barrier
	s_waitcnt lgkmcnt(0)
	v_sub_u32_e32 v65, v25, v0
	v_add_u32_e32 v146, 0x1000, v136
	v_sub_u32_e32 v112, v139, v111
	v_sub_u32_e32 v162, v140, v113
	v_add_u32_e32 v142, 0x1400, v136
	v_sub_u32_e32 v165, v143, v164
	;; [unrolled: 3-line block ×4, first 2 shown]
	v_add_u32_e32 v147, 0x2000, v136
	ds_read_b64 v[48:49], v136
	ds_read_b64 v[104:105], v112
	;; [unrolled: 1-line block ×10, first 2 shown]
	ds_read2_b64 v[88:91], v146 offset0:118 offset1:181
	ds_read2_b64 v[84:87], v142 offset0:116 offset1:179
	;; [unrolled: 1-line block ×5, first 2 shown]
	s_waitcnt lgkmcnt(0)
	; wave barrier
	s_waitcnt lgkmcnt(0)
	ds_write_b128 v109, v[92:95]
	v_add_f64 v[94:95], v[66:67], -v[70:71]
	v_fma_f64 v[92:93], v[66:67], 2.0, -v[94:95]
	v_add_f64 v[60:61], v[58:59], -v[62:63]
	v_add_f64 v[56:57], v[50:51], -v[54:55]
	;; [unrolled: 1-line block ×6, first 2 shown]
	v_fma_f64 v[58:59], v[58:59], 2.0, -v[60:61]
	v_fma_f64 v[54:55], v[50:51], 2.0, -v[56:57]
	;; [unrolled: 1-line block ×6, first 2 shown]
	ds_write_b128 v139, v[92:95]
	ds_write_b128 v140, v[58:61]
	;; [unrolled: 1-line block ×7, first 2 shown]
	v_add_f64 v[20:21], v[2:3], -v[14:15]
	v_and_b32_e32 v14, 1, v132
	v_fma_f64 v[18:19], v[2:3], 2.0, -v[20:21]
	v_add_f64 v[8:9], v[6:7], -v[10:11]
	v_lshlrev_b32_e32 v2, 4, v14
	v_fma_f64 v[6:7], v[6:7], 2.0, -v[8:9]
	ds_write_b128 v138, v[18:21]
	ds_write_b128 v25, v[6:9]
	s_waitcnt lgkmcnt(0)
	; wave barrier
	s_waitcnt lgkmcnt(0)
	global_load_dwordx4 v[8:11], v2, s[4:5]
	v_and_b32_e32 v42, 1, v106
	v_and_b32_e32 v15, 1, v134
	v_lshlrev_b32_e32 v6, 4, v42
	global_load_dwordx4 v[28:31], v6, s[4:5]
	v_lshlrev_b32_e32 v2, 4, v15
	global_load_dwordx4 v[20:23], v2, s[4:5]
	v_and_b32_e32 v18, 1, v135
	v_lshlrev_b32_e32 v2, 4, v18
	global_load_dwordx4 v[32:35], v2, s[4:5]
	v_and_b32_e32 v19, 1, v99
	;; [unrolled: 3-line block ×3, first 2 shown]
	v_lshlrev_b32_e32 v36, 4, v43
	ds_read2_b64 v[44:47], v146 offset0:118 offset1:181
	ds_read_b64 v[116:117], v64
	ds_read_b64 v[114:115], v114
	ds_read_b64 v[70:71], v65
	ds_read_b64 v[120:121], v167
	ds_read_b64 v[118:119], v118
	ds_read_b64 v[122:123], v169
	ds_read_b64 v[130:131], v136
	ds_read_b64 v[128:129], v112
	ds_read_b64 v[126:127], v162
	ds_read_b64 v[124:125], v165
	ds_read2_b64 v[64:67], v142 offset0:116 offset1:179
	global_load_dwordx4 v[36:39], v36, s[4:5]
	s_movk_i32 s0, 0x7c
	v_lshlrev_b32_e32 v54, 1, v132
	v_and_or_b32 v54, v54, s0, v14
	v_lshl_add_u32 v150, v54, 3, 0
	s_movk_i32 s0, 0xfc
	s_movk_i32 s1, 0x2fc
	v_sub_u32_e32 v160, 0, v111
	v_add_u32_e32 v163, 0x800, v136
	s_waitcnt vmcnt(5) lgkmcnt(11)
	v_mul_f64 v[2:3], v[44:45], v[10:11]
	v_fma_f64 v[2:3], v[88:89], v[8:9], -v[2:3]
	v_add_f64 v[2:3], v[48:49], -v[2:3]
	v_fma_f64 v[6:7], v[48:49], 2.0, -v[2:3]
	ds_read2_b64 v[60:63], v149 offset0:114 offset1:177
	ds_read2_b64 v[56:59], v148 offset0:112 offset1:175
	;; [unrolled: 1-line block ×3, first 2 shown]
	s_waitcnt lgkmcnt(0)
	; wave barrier
	s_waitcnt lgkmcnt(0)
	ds_write2_b64 v150, v[6:7], v[2:3] offset1:2
	v_lshlrev_b32_e32 v2, 1, v134
	v_and_or_b32 v15, v2, s0, v15
	s_waitcnt vmcnt(3)
	v_mul_f64 v[2:3], v[46:47], v[22:23]
	v_fma_f64 v[2:3], v[90:91], v[20:21], -v[2:3]
	v_add_f64 v[2:3], v[104:105], -v[2:3]
	v_fma_f64 v[6:7], v[104:105], 2.0, -v[2:3]
	v_lshl_add_u32 v151, v15, 3, 0
	ds_write2_b64 v151, v[6:7], v[2:3] offset1:2
	v_mul_f64 v[2:3], v[64:65], v[10:11]
	v_fma_f64 v[2:3], v[84:85], v[8:9], -v[2:3]
	s_movk_i32 s0, 0x1fc
	v_lshlrev_b32_e32 v15, 1, v133
	v_add_f64 v[2:3], v[102:103], -v[2:3]
	v_and_or_b32 v15, v15, s0, v14
	v_fma_f64 v[6:7], v[102:103], 2.0, -v[2:3]
	v_lshl_add_u32 v152, v15, 3, 0
	ds_write2_b64 v152, v[6:7], v[2:3] offset1:2
	v_lshlrev_b32_e32 v2, 1, v135
	v_and_or_b32 v15, v2, s0, v18
	s_waitcnt vmcnt(2)
	v_mul_f64 v[2:3], v[66:67], v[34:35]
	v_fma_f64 v[2:3], v[86:87], v[32:33], -v[2:3]
	v_add_f64 v[2:3], v[68:69], -v[2:3]
	v_fma_f64 v[6:7], v[68:69], 2.0, -v[2:3]
	v_lshl_add_u32 v153, v15, 3, 0
	ds_write2_b64 v153, v[6:7], v[2:3] offset1:2
	v_mul_f64 v[2:3], v[60:61], v[10:11]
	v_fma_f64 v[2:3], v[80:81], v[8:9], -v[2:3]
	s_movk_i32 s0, 0x3fc
	v_lshlrev_b32_e32 v15, 1, v98
	v_add_f64 v[2:3], v[52:53], -v[2:3]
	v_and_or_b32 v15, v15, s0, v14
	v_fma_f64 v[6:7], v[52:53], 2.0, -v[2:3]
	v_lshl_add_u32 v154, v15, 3, 0
	ds_write2_b64 v154, v[6:7], v[2:3] offset1:2
	v_lshlrev_b32_e32 v2, 1, v99
	v_and_or_b32 v15, v2, s1, v19
	s_waitcnt vmcnt(1)
	v_mul_f64 v[2:3], v[62:63], v[26:27]
	v_fma_f64 v[2:3], v[82:83], v[24:25], -v[2:3]
	v_add_f64 v[2:3], v[40:41], -v[2:3]
	v_fma_f64 v[6:7], v[40:41], 2.0, -v[2:3]
	v_lshl_add_u32 v155, v15, 3, 0
	ds_write2_b64 v155, v[6:7], v[2:3] offset1:2
	v_mul_f64 v[2:3], v[56:57], v[10:11]
	v_fma_f64 v[2:3], v[76:77], v[8:9], -v[2:3]
	v_lshlrev_b32_e32 v15, 1, v137
	v_add_f64 v[2:3], v[16:17], -v[2:3]
	v_and_or_b32 v15, v15, s0, v14
	v_fma_f64 v[6:7], v[16:17], 2.0, -v[2:3]
	v_lshl_add_u32 v156, v15, 3, 0
	ds_write2_b64 v156, v[6:7], v[2:3] offset1:2
	v_lshlrev_b32_e32 v2, 1, v106
	v_and_or_b32 v15, v2, s0, v42
	v_mul_f64 v[2:3], v[58:59], v[30:31]
	v_fma_f64 v[2:3], v[78:79], v[28:29], -v[2:3]
	v_add_f64 v[2:3], v[12:13], -v[2:3]
	v_fma_f64 v[6:7], v[12:13], 2.0, -v[2:3]
	v_lshl_add_u32 v157, v15, 3, 0
	ds_write2_b64 v157, v[6:7], v[2:3] offset1:2
	v_lshlrev_b32_e32 v2, 1, v107
	s_movk_i32 s0, 0x7fc
	v_and_or_b32 v6, v2, s0, v14
	v_mul_f64 v[2:3], v[48:49], v[10:11]
	v_fma_f64 v[2:3], v[72:73], v[8:9], -v[2:3]
	v_add_f64 v[2:3], v[4:5], -v[2:3]
	v_fma_f64 v[4:5], v[4:5], 2.0, -v[2:3]
	v_lshl_add_u32 v158, v6, 3, 0
	ds_write2_b64 v158, v[4:5], v[2:3] offset1:2
	v_lshlrev_b32_e32 v2, 1, v108
	s_movk_i32 s0, 0x4fc
	v_and_or_b32 v4, v2, s0, v43
	v_sub_u32_e32 v2, 0, v159
	v_add_u32_e32 v142, v110, v2
	s_waitcnt vmcnt(0)
	v_mul_f64 v[2:3], v[50:51], v[38:39]
	v_fma_f64 v[2:3], v[74:75], v[36:37], -v[2:3]
	v_add_f64 v[110:111], v[0:1], -v[2:3]
	v_fma_f64 v[68:69], v[0:1], 2.0, -v[110:111]
	v_lshl_add_u32 v161, v4, 3, 0
	ds_write2_b64 v161, v[68:69], v[110:111] offset1:2
	s_waitcnt lgkmcnt(0)
	; wave barrier
	s_waitcnt lgkmcnt(0)
	ds_read_b64 v[104:105], v162
	ds_read_b64 v[102:103], v165
	;; [unrolled: 1-line block ×6, first 2 shown]
	ds_read2_b64 v[52:55], v163 offset0:164 offset1:227
	ds_read2_b64 v[40:43], v149 offset0:72 offset1:135
	ds_read2_b64 v[16:19], v146 offset0:34 offset1:97
	ds_read2_b64 v[12:15], v148 offset0:70 offset1:133
	ds_read2_b64 v[4:7], v146 offset0:160 offset1:223
	ds_read2_b64 v[0:3], v147 offset0:68 offset1:131
	v_sub_u32_e32 v159, 0, v113
	v_sub_u32_e32 v165, 0, v164
	;; [unrolled: 1-line block ×4, first 2 shown]
	v_cmp_gt_u32_e64 s[0:1], 42, v132
                                        ; implicit-def: $vgpr112_vgpr113
	s_and_saveexec_b64 s[6:7], s[0:1]
	s_cbranch_execz .LBB0_15
; %bb.14:
	ds_read_b64 v[110:111], v136 offset:6384
	ds_read_b64 v[68:69], v142
	ds_read_b64 v[112:113], v136 offset:9744
.LBB0_15:
	s_or_b64 exec, exec, s[6:7]
	v_mul_f64 v[22:23], v[90:91], v[22:23]
	v_mul_f64 v[34:35], v[86:87], v[34:35]
	v_mul_f64 v[26:27], v[82:83], v[26:27]
	v_mul_f64 v[88:89], v[88:89], v[10:11]
	v_fmac_f64_e32 v[22:23], v[46:47], v[20:21]
	v_mul_f64 v[20:21], v[84:85], v[10:11]
	v_fmac_f64_e32 v[34:35], v[66:67], v[32:33]
	v_mul_f64 v[32:33], v[80:81], v[10:11]
	;; [unrolled: 2-line block ×3, first 2 shown]
	v_mul_f64 v[30:31], v[78:79], v[30:31]
	v_mul_f64 v[10:11], v[72:73], v[10:11]
	v_fmac_f64_e32 v[88:89], v[44:45], v[8:9]
	v_fmac_f64_e32 v[20:21], v[64:65], v[8:9]
	;; [unrolled: 1-line block ×6, first 2 shown]
	v_mul_f64 v[8:9], v[74:75], v[38:39]
	v_fmac_f64_e32 v[8:9], v[50:51], v[36:37]
	v_add_f64 v[28:29], v[130:131], -v[88:89]
	v_add_f64 v[22:23], v[128:129], -v[22:23]
	;; [unrolled: 1-line block ×6, first 2 shown]
	v_fma_f64 v[36:37], v[130:131], 2.0, -v[28:29]
	v_fma_f64 v[38:39], v[128:129], 2.0, -v[22:23]
	;; [unrolled: 1-line block ×4, first 2 shown]
	v_add_f64 v[32:33], v[120:121], -v[32:33]
	v_add_f64 v[26:27], v[122:123], -v[26:27]
	v_fma_f64 v[60:61], v[118:119], 2.0, -v[24:25]
	v_fma_f64 v[62:63], v[116:117], 2.0, -v[30:31]
	v_add_f64 v[10:11], v[114:115], -v[10:11]
	v_add_f64 v[56:57], v[70:71], -v[8:9]
	v_fma_f64 v[50:51], v[120:121], 2.0, -v[32:33]
	v_fma_f64 v[58:59], v[122:123], 2.0, -v[26:27]
	;; [unrolled: 1-line block ×4, first 2 shown]
	s_waitcnt lgkmcnt(0)
	; wave barrier
	s_waitcnt lgkmcnt(0)
	ds_write2_b64 v150, v[36:37], v[28:29] offset1:2
	ds_write2_b64 v151, v[38:39], v[22:23] offset1:2
	;; [unrolled: 1-line block ×10, first 2 shown]
	s_waitcnt lgkmcnt(0)
	; wave barrier
	s_waitcnt lgkmcnt(0)
	ds_read2_b64 v[36:39], v163 offset0:164 offset1:227
	ds_read2_b64 v[32:35], v149 offset0:72 offset1:135
	v_add_u32_e32 v131, v139, v160
	v_add_u32_e32 v130, v140, v159
	ds_read2_b64 v[28:31], v146 offset0:34 offset1:97
	ds_read2_b64 v[24:27], v148 offset0:70 offset1:133
	v_add_u32_e32 v139, v143, v165
	ds_read_b64 v[62:63], v136
	ds_read_b64 v[60:61], v131
	;; [unrolled: 1-line block ×4, first 2 shown]
	v_add_u32_e32 v140, v144, v164
	ds_read2_b64 v[20:23], v146 offset0:160 offset1:223
	ds_read2_b64 v[8:11], v147 offset0:68 offset1:131
	v_add_u32_e32 v143, v145, v162
	ds_read_b64 v[70:71], v140
	ds_read_b64 v[64:65], v143
                                        ; implicit-def: $vgpr50_vgpr51
	s_and_saveexec_b64 s[6:7], s[0:1]
	s_cbranch_execz .LBB0_17
; %bb.16:
	ds_read_b64 v[56:57], v136 offset:6384
	ds_read_b64 v[48:49], v142
	ds_read_b64 v[50:51], v136 offset:9744
.LBB0_17:
	s_or_b64 exec, exec, s[6:7]
	v_and_b32_e32 v58, 3, v132
	v_lshlrev_b32_e32 v59, 5, v58
	global_load_dwordx4 v[72:75], v59, s[4:5] offset:48
	global_load_dwordx4 v[120:123], v59, s[4:5] offset:32
	v_and_b32_e32 v59, 3, v134
	v_and_b32_e32 v144, 3, v137
	s_mov_b32 s6, 0xe8584caa
	s_mov_b32 s7, 0x3febb67a
	;; [unrolled: 1-line block ×4, first 2 shown]
	s_waitcnt vmcnt(0) lgkmcnt(11)
	v_mul_f64 v[66:67], v[36:37], v[122:123]
	v_fma_f64 v[76:77], v[52:53], v[120:121], -v[66:67]
	v_mul_f64 v[52:53], v[52:53], v[122:123]
	v_fmac_f64_e32 v[52:53], v[36:37], v[120:121]
	s_waitcnt lgkmcnt(10)
	v_mul_f64 v[36:37], v[32:33], v[74:75]
	v_fma_f64 v[36:37], v[40:41], v[72:73], -v[36:37]
	v_mul_f64 v[40:41], v[40:41], v[74:75]
	v_fmac_f64_e32 v[40:41], v[32:33], v[72:73]
	v_lshlrev_b32_e32 v32, 5, v59
	global_load_dwordx4 v[80:83], v32, s[4:5] offset:48
	global_load_dwordx4 v[84:87], v32, s[4:5] offset:32
	v_and_b32_e32 v66, 3, v133
	v_and_b32_e32 v67, 3, v135
	s_waitcnt vmcnt(0)
	v_mul_f64 v[78:79], v[54:55], v[86:87]
	v_mul_f64 v[32:33], v[38:39], v[86:87]
	v_fmac_f64_e32 v[78:79], v[38:39], v[84:85]
	v_mul_f64 v[38:39], v[34:35], v[82:83]
	v_fma_f64 v[38:39], v[42:43], v[80:81], -v[38:39]
	v_mul_f64 v[42:43], v[42:43], v[82:83]
	v_fmac_f64_e32 v[42:43], v[34:35], v[80:81]
	v_lshlrev_b32_e32 v34, 5, v66
	global_load_dwordx4 v[86:89], v34, s[4:5] offset:48
	global_load_dwordx4 v[80:83], v34, s[4:5] offset:32
	v_fma_f64 v[32:33], v[54:55], v[84:85], -v[32:33]
	s_waitcnt vmcnt(1)
	v_mul_f64 v[84:85], v[12:13], v[88:89]
	s_waitcnt vmcnt(0) lgkmcnt(9)
	v_mul_f64 v[34:35], v[28:29], v[82:83]
	v_fma_f64 v[34:35], v[16:17], v[80:81], -v[34:35]
	v_mul_f64 v[16:17], v[16:17], v[82:83]
	v_fmac_f64_e32 v[16:17], v[28:29], v[80:81]
	s_waitcnt lgkmcnt(8)
	v_mul_f64 v[28:29], v[24:25], v[88:89]
	v_fma_f64 v[82:83], v[12:13], v[86:87], -v[28:29]
	v_lshlrev_b32_e32 v12, 5, v67
	global_load_dwordx4 v[116:119], v12, s[4:5] offset:48
	global_load_dwordx4 v[88:91], v12, s[4:5] offset:32
	v_fmac_f64_e32 v[84:85], v[24:25], v[86:87]
	s_waitcnt vmcnt(0)
	v_mul_f64 v[12:13], v[30:31], v[90:91]
	v_fma_f64 v[86:87], v[18:19], v[88:89], -v[12:13]
	v_mul_f64 v[12:13], v[26:27], v[118:119]
	v_mul_f64 v[90:91], v[18:19], v[90:91]
	v_fma_f64 v[114:115], v[14:15], v[116:117], -v[12:13]
	v_mul_f64 v[118:119], v[14:15], v[118:119]
	s_waitcnt lgkmcnt(3)
	v_mul_f64 v[12:13], v[20:21], v[122:123]
	v_fmac_f64_e32 v[90:91], v[30:31], v[88:89]
	v_fmac_f64_e32 v[118:119], v[26:27], v[116:117]
	v_fma_f64 v[18:19], v[4:5], v[120:121], -v[12:13]
	v_mul_f64 v[88:89], v[4:5], v[122:123]
	s_waitcnt lgkmcnt(2)
	v_mul_f64 v[4:5], v[8:9], v[74:75]
	v_mul_f64 v[116:117], v[0:1], v[74:75]
	v_fmac_f64_e32 v[88:89], v[20:21], v[120:121]
	v_fma_f64 v[20:21], v[0:1], v[72:73], -v[4:5]
	v_fmac_f64_e32 v[116:117], v[8:9], v[72:73]
	v_and_b32_e32 v72, 3, v99
	v_lshlrev_b32_e32 v0, 5, v72
	global_load_dwordx4 v[12:15], v0, s[4:5] offset:48
	global_load_dwordx4 v[24:27], v0, s[4:5] offset:32
	v_lshlrev_b32_e32 v8, 5, v144
	s_waitcnt vmcnt(1)
	v_mul_f64 v[124:125], v[2:3], v[14:15]
	s_waitcnt vmcnt(0)
	v_mul_f64 v[0:1], v[22:23], v[26:27]
	v_fma_f64 v[120:121], v[6:7], v[24:25], -v[0:1]
	v_mul_f64 v[122:123], v[6:7], v[26:27]
	v_mul_f64 v[0:1], v[10:11], v[14:15]
	v_fmac_f64_e32 v[122:123], v[22:23], v[24:25]
	v_fma_f64 v[22:23], v[2:3], v[12:13], -v[0:1]
	global_load_dwordx4 v[0:3], v8, s[4:5] offset:48
	global_load_dwordx4 v[4:7], v8, s[4:5] offset:32
	v_fmac_f64_e32 v[124:125], v[10:11], v[12:13]
	v_add_f64 v[10:11], v[34:35], v[82:83]
	v_add_f64 v[14:15], v[86:87], v[114:115]
	;; [unrolled: 1-line block ×4, first 2 shown]
	s_waitcnt lgkmcnt(0)
	; wave barrier
	s_waitcnt vmcnt(0) lgkmcnt(0)
	v_mul_f64 v[8:9], v[56:57], v[6:7]
	v_fma_f64 v[126:127], v[110:111], v[4:5], -v[8:9]
	v_mul_f64 v[110:111], v[110:111], v[6:7]
	v_fmac_f64_e32 v[110:111], v[56:57], v[4:5]
	v_mul_f64 v[4:5], v[50:51], v[2:3]
	v_fma_f64 v[128:129], v[112:113], v[0:1], -v[4:5]
	v_mul_f64 v[112:113], v[112:113], v[2:3]
	v_add_f64 v[2:3], v[76:77], v[36:37]
	v_fmac_f64_e32 v[112:113], v[50:51], v[0:1]
	v_add_f64 v[0:1], v[108:109], v[76:77]
	v_fmac_f64_e32 v[108:109], -0.5, v[2:3]
	v_add_f64 v[2:3], v[52:53], -v[40:41]
	v_add_f64 v[6:7], v[32:33], v[38:39]
	v_fma_f64 v[4:5], s[6:7], v[2:3], v[108:109]
	v_fmac_f64_e32 v[108:109], s[8:9], v[2:3]
	v_add_f64 v[2:3], v[106:107], v[32:33]
	v_fmac_f64_e32 v[106:107], -0.5, v[6:7]
	v_add_f64 v[6:7], v[78:79], -v[42:43]
	v_fma_f64 v[8:9], s[6:7], v[6:7], v[106:107]
	v_fmac_f64_e32 v[106:107], s[8:9], v[6:7]
	v_add_f64 v[6:7], v[104:105], v[34:35]
	v_fmac_f64_e32 v[104:105], -0.5, v[10:11]
	v_add_f64 v[10:11], v[16:17], -v[84:85]
	;; [unrolled: 5-line block ×5, first 2 shown]
	v_fma_f64 v[54:55], s[6:7], v[30:31], v[92:93]
	v_fmac_f64_e32 v[92:93], s[8:9], v[30:31]
	v_add_f64 v[30:31], v[68:69], v[126:127]
	v_add_f64 v[50:51], v[30:31], v[128:129]
	;; [unrolled: 1-line block ×3, first 2 shown]
	v_fmac_f64_e32 v[68:69], -0.5, v[30:31]
	v_add_f64 v[30:31], v[110:111], -v[112:113]
	v_fma_f64 v[80:81], s[6:7], v[30:31], v[68:69]
	v_fmac_f64_e32 v[68:69], s[8:9], v[30:31]
	v_lshrrev_b32_e32 v30, 2, v132
	v_mul_u32_u24_e32 v30, 12, v30
	v_or_b32_e32 v30, v30, v58
	v_add_f64 v[0:1], v[0:1], v[36:37]
	v_lshl_add_u32 v145, v30, 3, 0
	ds_write2_b64 v145, v[0:1], v[4:5] offset1:4
	ds_write_b64 v145, v[108:109] offset:64
	v_lshrrev_b32_e32 v0, 2, v134
	v_mul_lo_u32 v0, v0, 12
	v_or_b32_e32 v0, v0, v59
	v_lshl_add_u32 v108, v0, 3, 0
	v_lshrrev_b32_e32 v0, 2, v133
	v_mul_lo_u32 v0, v0, 12
	v_add_f64 v[2:3], v[2:3], v[38:39]
	v_or_b32_e32 v0, v0, v66
	ds_write2_b64 v108, v[2:3], v[8:9] offset1:4
	ds_write_b64 v108, v[106:107] offset:64
	v_lshl_add_u32 v106, v0, 3, 0
	v_lshrrev_b32_e32 v0, 2, v135
	v_mul_lo_u32 v0, v0, 12
	v_add_f64 v[6:7], v[6:7], v[82:83]
	v_or_b32_e32 v0, v0, v67
	ds_write2_b64 v106, v[6:7], v[12:13] offset1:4
	ds_write_b64 v106, v[104:105] offset:64
	;; [unrolled: 7-line block ×3, first 2 shown]
	v_lshl_add_u32 v102, v0, 3, 0
	v_lshrrev_b32_e32 v0, 2, v99
	v_mul_lo_u32 v0, v0, 12
	v_add_f64 v[14:15], v[14:15], v[20:21]
	v_or_b32_e32 v0, v0, v72
	v_add_f64 v[26:27], v[26:27], v[22:23]
	ds_write2_b64 v102, v[14:15], v[28:29] offset1:4
	ds_write_b64 v102, v[94:95] offset:64
	v_lshl_add_u32 v94, v0, 3, 0
	ds_write2_b64 v94, v[26:27], v[54:55] offset1:4
	ds_write_b64 v94, v[92:93] offset:64
	v_lshrrev_b32_e32 v92, 2, v137
	s_and_saveexec_b64 s[6:7], s[0:1]
	s_cbranch_execz .LBB0_19
; %bb.18:
	v_mul_lo_u32 v0, v92, 12
	v_or_b32_e32 v0, v0, v144
	v_lshl_add_u32 v0, v0, 3, 0
	ds_write2_b64 v0, v[50:51], v[80:81] offset1:4
	ds_write_b64 v0, v[68:69] offset:64
.LBB0_19:
	s_or_b64 exec, exec, s[6:7]
	v_add_u32_e32 v0, 0x800, v136
	s_waitcnt lgkmcnt(0)
	; wave barrier
	s_waitcnt lgkmcnt(0)
	ds_read2_b64 v[28:31], v0 offset0:164 offset1:227
	v_add_u32_e32 v0, 0x1800, v136
	ds_read2_b64 v[24:27], v0 offset0:72 offset1:135
	v_add_u32_e32 v0, 0x1000, v136
	v_add_u32_e32 v1, 0x1c00, v136
	ds_read2_b64 v[12:15], v0 offset0:34 offset1:97
	ds_read2_b64 v[8:11], v1 offset0:70 offset1:133
	ds_read_b64 v[74:75], v136
	ds_read_b64 v[72:73], v131
	;; [unrolled: 1-line block ×4, first 2 shown]
	ds_read2_b64 v[4:7], v0 offset0:160 offset1:223
	v_add_u32_e32 v0, 0x2000, v136
	ds_read2_b64 v[0:3], v0 offset0:68 offset1:131
	ds_read_b64 v[56:57], v140
	ds_read_b64 v[54:55], v143
	s_and_saveexec_b64 s[6:7], s[0:1]
	s_cbranch_execz .LBB0_21
; %bb.20:
	ds_read_b64 v[80:81], v136 offset:6384
	ds_read_b64 v[50:51], v142
	ds_read_b64 v[68:69], v136 offset:9744
.LBB0_21:
	s_or_b64 exec, exec, s[6:7]
	v_add_f64 v[146:147], v[62:63], v[52:53]
	v_add_f64 v[146:147], v[146:147], v[40:41]
	;; [unrolled: 1-line block ×3, first 2 shown]
	s_mov_b32 s6, 0xe8584caa
	v_fmac_f64_e32 v[62:63], -0.5, v[40:41]
	v_add_f64 v[36:37], v[76:77], -v[36:37]
	s_mov_b32 s7, 0xbfebb67a
	s_mov_b32 s9, 0x3febb67a
	s_mov_b32 s8, s6
	v_fma_f64 v[40:41], s[6:7], v[36:37], v[62:63]
	v_fmac_f64_e32 v[62:63], s[8:9], v[36:37]
	v_add_f64 v[36:37], v[60:61], v[78:79]
	v_add_f64 v[36:37], v[36:37], v[42:43]
	v_add_f64 v[42:43], v[78:79], v[42:43]
	v_fmac_f64_e32 v[60:61], -0.5, v[42:43]
	v_add_f64 v[32:33], v[32:33], -v[38:39]
	v_fma_f64 v[38:39], s[6:7], v[32:33], v[60:61]
	v_fmac_f64_e32 v[60:61], s[8:9], v[32:33]
	v_add_f64 v[32:33], v[46:47], v[16:17]
	v_add_f64 v[16:17], v[16:17], v[84:85]
	v_fmac_f64_e32 v[46:47], -0.5, v[16:17]
	v_add_f64 v[16:17], v[34:35], -v[82:83]
	v_add_f64 v[42:43], v[90:91], v[118:119]
	v_fma_f64 v[34:35], s[6:7], v[16:17], v[46:47]
	v_fmac_f64_e32 v[46:47], s[8:9], v[16:17]
	v_add_f64 v[16:17], v[44:45], v[90:91]
	v_fmac_f64_e32 v[44:45], -0.5, v[42:43]
	v_add_f64 v[42:43], v[86:87], -v[114:115]
	v_add_f64 v[52:53], v[88:89], v[116:117]
	v_fma_f64 v[76:77], s[6:7], v[42:43], v[44:45]
	v_fmac_f64_e32 v[44:45], s[8:9], v[42:43]
	;; [unrolled: 6-line block ×3, first 2 shown]
	v_add_f64 v[18:19], v[64:65], v[122:123]
	v_fmac_f64_e32 v[64:65], -0.5, v[52:53]
	v_add_f64 v[22:23], v[120:121], -v[22:23]
	v_fma_f64 v[78:79], s[6:7], v[22:23], v[64:65]
	v_fmac_f64_e32 v[64:65], s[8:9], v[22:23]
	v_add_f64 v[22:23], v[48:49], v[110:111]
	v_add_f64 v[52:53], v[22:23], v[112:113]
	;; [unrolled: 1-line block ×3, first 2 shown]
	v_fmac_f64_e32 v[48:49], -0.5, v[22:23]
	v_add_f64 v[22:23], v[126:127], -v[128:129]
	v_add_f64 v[32:33], v[32:33], v[84:85]
	v_fma_f64 v[84:85], s[6:7], v[22:23], v[48:49]
	v_fmac_f64_e32 v[48:49], s[8:9], v[22:23]
	v_add_f64 v[16:17], v[16:17], v[118:119]
	v_add_f64 v[42:43], v[42:43], v[116:117]
	;; [unrolled: 1-line block ×3, first 2 shown]
	s_waitcnt lgkmcnt(0)
	; wave barrier
	s_waitcnt lgkmcnt(0)
	ds_write2_b64 v145, v[146:147], v[40:41] offset1:4
	ds_write_b64 v145, v[62:63] offset:64
	ds_write2_b64 v108, v[36:37], v[38:39] offset1:4
	ds_write_b64 v108, v[60:61] offset:64
	;; [unrolled: 2-line block ×6, first 2 shown]
	s_and_saveexec_b64 s[6:7], s[0:1]
	s_cbranch_execz .LBB0_23
; %bb.22:
	v_mul_lo_u32 v16, v92, 12
	v_or_b32_e32 v16, v16, v144
	v_lshl_add_u32 v16, v16, 3, 0
	ds_write2_b64 v16, v[52:53], v[84:85] offset1:4
	ds_write_b64 v16, v[48:49] offset:64
.LBB0_23:
	s_or_b64 exec, exec, s[6:7]
	v_add_u32_e32 v16, 0x800, v136
	s_waitcnt lgkmcnt(0)
	; wave barrier
	s_waitcnt lgkmcnt(0)
	ds_read2_b64 v[44:47], v16 offset0:164 offset1:227
	v_add_u32_e32 v16, 0x1800, v136
	ds_read2_b64 v[40:43], v16 offset0:72 offset1:135
	v_add_u32_e32 v16, 0x1000, v136
	v_add_u32_e32 v17, 0x1c00, v136
	ds_read2_b64 v[36:39], v16 offset0:34 offset1:97
	ds_read2_b64 v[32:35], v17 offset0:70 offset1:133
	ds_read_b64 v[76:77], v136
	ds_read_b64 v[64:65], v131
	;; [unrolled: 1-line block ×4, first 2 shown]
	ds_read2_b64 v[20:23], v16 offset0:160 offset1:223
	v_add_u32_e32 v16, 0x2000, v136
	ds_read2_b64 v[16:19], v16 offset0:68 offset1:131
	ds_read_b64 v[78:79], v140
	ds_read_b64 v[70:71], v143
	s_and_saveexec_b64 s[6:7], s[0:1]
	s_cbranch_execz .LBB0_25
; %bb.24:
	ds_read_b64 v[84:85], v136 offset:6384
	ds_read_b64 v[52:53], v142
	ds_read_b64 v[48:49], v136 offset:9744
.LBB0_25:
	s_or_b64 exec, exec, s[6:7]
	s_movk_i32 s6, 0xab
	v_mul_lo_u16_sdwa v82, v132, s6 dst_sel:DWORD dst_unused:UNUSED_PAD src0_sel:BYTE_0 src1_sel:DWORD
	v_lshrrev_b16_e32 v91, 11, v82
	v_mul_lo_u16_e32 v82, 12, v91
	v_sub_u16_e32 v92, v132, v82
	v_mov_b32_e32 v93, 5
	v_lshlrev_b32_sdwa v82, v93, v92 dst_sel:DWORD dst_unused:UNUSED_PAD src0_sel:DWORD src1_sel:BYTE_0
	global_load_dwordx4 v[86:89], v82, s[4:5] offset:176
	global_load_dwordx4 v[102:105], v82, s[4:5] offset:160
	v_sub_u32_e32 v90, 0, v141
	s_mov_b32 s9, 0xbfebb67a
	v_mov_b32_e32 v143, 3
	v_mul_u32_u24_e32 v91, 0x120, v91
	v_lshlrev_b32_sdwa v92, v143, v92 dst_sel:DWORD dst_unused:UNUSED_PAD src0_sel:DWORD src1_sel:BYTE_0
	v_add3_u32 v91, 0, v91, v92
	s_mov_b32 s13, 0x5040100
	s_movk_i32 s12, 0x120
	s_waitcnt vmcnt(0) lgkmcnt(11)
	v_mul_f64 v[82:83], v[44:45], v[104:105]
	v_fma_f64 v[82:83], v[28:29], v[102:103], -v[82:83]
	v_mul_f64 v[28:29], v[28:29], v[104:105]
	v_fmac_f64_e32 v[28:29], v[44:45], v[102:103]
	s_waitcnt lgkmcnt(10)
	v_mul_f64 v[44:45], v[40:41], v[88:89]
	v_fma_f64 v[44:45], v[24:25], v[86:87], -v[44:45]
	v_mul_f64 v[24:25], v[24:25], v[88:89]
	v_fmac_f64_e32 v[24:25], v[40:41], v[86:87]
	v_mul_lo_u16_sdwa v40, v134, s6 dst_sel:DWORD dst_unused:UNUSED_PAD src0_sel:BYTE_0 src1_sel:DWORD
	v_lshrrev_b16_e32 v122, 11, v40
	v_mul_lo_u16_e32 v40, 12, v122
	v_sub_u16_e32 v123, v134, v40
	v_lshlrev_b32_sdwa v40, v93, v123 dst_sel:DWORD dst_unused:UNUSED_PAD src0_sel:DWORD src1_sel:BYTE_0
	global_load_dwordx4 v[86:89], v40, s[4:5] offset:176
	global_load_dwordx4 v[102:105], v40, s[4:5] offset:160
	s_waitcnt vmcnt(0)
	v_mul_f64 v[40:41], v[46:47], v[104:105]
	v_fma_f64 v[40:41], v[30:31], v[102:103], -v[40:41]
	v_mul_f64 v[30:31], v[30:31], v[104:105]
	v_fmac_f64_e32 v[30:31], v[46:47], v[102:103]
	v_mul_f64 v[46:47], v[42:43], v[88:89]
	v_fma_f64 v[46:47], v[26:27], v[86:87], -v[46:47]
	v_mul_f64 v[26:27], v[26:27], v[88:89]
	v_fmac_f64_e32 v[26:27], v[42:43], v[86:87]
	v_mul_lo_u16_sdwa v42, v133, s6 dst_sel:DWORD dst_unused:UNUSED_PAD src0_sel:BYTE_0 src1_sel:DWORD
	v_lshrrev_b16_e32 v124, 11, v42
	v_mul_lo_u16_e32 v42, 12, v124
	v_sub_u16_e32 v125, v133, v42
	v_lshlrev_b32_sdwa v42, v93, v125 dst_sel:DWORD dst_unused:UNUSED_PAD src0_sel:DWORD src1_sel:BYTE_0
	global_load_dwordx4 v[86:89], v42, s[4:5] offset:176
	global_load_dwordx4 v[102:105], v42, s[4:5] offset:160
	s_waitcnt vmcnt(0) lgkmcnt(9)
	v_mul_f64 v[42:43], v[36:37], v[104:105]
	v_fma_f64 v[42:43], v[12:13], v[102:103], -v[42:43]
	v_mul_f64 v[12:13], v[12:13], v[104:105]
	v_fmac_f64_e32 v[12:13], v[36:37], v[102:103]
	s_waitcnt lgkmcnt(8)
	v_mul_f64 v[36:37], v[32:33], v[88:89]
	v_fma_f64 v[36:37], v[8:9], v[86:87], -v[36:37]
	v_mul_f64 v[8:9], v[8:9], v[88:89]
	v_fmac_f64_e32 v[8:9], v[32:33], v[86:87]
	v_mul_lo_u16_sdwa v32, v135, s6 dst_sel:DWORD dst_unused:UNUSED_PAD src0_sel:BYTE_0 src1_sel:DWORD
	v_lshrrev_b16_e32 v126, 11, v32
	v_mul_lo_u16_e32 v32, 12, v126
	v_sub_u16_e32 v127, v135, v32
	v_lshlrev_b32_sdwa v32, v93, v127 dst_sel:DWORD dst_unused:UNUSED_PAD src0_sel:DWORD src1_sel:BYTE_0
	global_load_dwordx4 v[86:89], v32, s[4:5] offset:176
	global_load_dwordx4 v[102:105], v32, s[4:5] offset:160
	s_mov_b32 s6, 0xaaab
	s_waitcnt vmcnt(0)
	v_mul_f64 v[32:33], v[38:39], v[104:105]
	v_fma_f64 v[32:33], v[14:15], v[102:103], -v[32:33]
	v_mul_f64 v[14:15], v[14:15], v[104:105]
	v_fmac_f64_e32 v[14:15], v[38:39], v[102:103]
	v_mul_f64 v[38:39], v[34:35], v[88:89]
	v_fma_f64 v[38:39], v[10:11], v[86:87], -v[38:39]
	v_mul_f64 v[10:11], v[10:11], v[88:89]
	v_fmac_f64_e32 v[10:11], v[34:35], v[86:87]
	v_mul_u32_u24_sdwa v34, v98, s6 dst_sel:DWORD dst_unused:UNUSED_PAD src0_sel:WORD_0 src1_sel:DWORD
	v_lshrrev_b32_e32 v93, 19, v34
	v_mul_lo_u16_e32 v34, 12, v93
	v_sub_u16_e32 v128, v98, v34
	v_lshlrev_b32_e32 v34, 5, v128
	global_load_dwordx4 v[86:89], v34, s[4:5] offset:176
	global_load_dwordx4 v[102:105], v34, s[4:5] offset:160
	s_waitcnt vmcnt(0) lgkmcnt(3)
	v_mul_f64 v[34:35], v[20:21], v[104:105]
	v_fma_f64 v[34:35], v[4:5], v[102:103], -v[34:35]
	v_mul_f64 v[4:5], v[4:5], v[104:105]
	v_fmac_f64_e32 v[4:5], v[20:21], v[102:103]
	s_waitcnt lgkmcnt(2)
	v_mul_f64 v[20:21], v[16:17], v[88:89]
	v_fma_f64 v[20:21], v[0:1], v[86:87], -v[20:21]
	v_mul_f64 v[0:1], v[0:1], v[88:89]
	v_fmac_f64_e32 v[0:1], v[16:17], v[86:87]
	v_mul_u32_u24_sdwa v16, v99, s6 dst_sel:DWORD dst_unused:UNUSED_PAD src0_sel:WORD_0 src1_sel:DWORD
	v_lshrrev_b32_e32 v129, 19, v16
	v_mul_lo_u16_e32 v16, 12, v129
	v_sub_u16_e32 v141, v99, v16
	v_lshlrev_b32_e32 v16, 5, v141
	global_load_dwordx4 v[102:105], v16, s[4:5] offset:176
	global_load_dwordx4 v[86:89], v16, s[4:5] offset:160
	s_waitcnt vmcnt(0)
	v_mul_f64 v[16:17], v[22:23], v[88:89]
	v_fma_f64 v[16:17], v[6:7], v[86:87], -v[16:17]
	v_mul_f64 v[6:7], v[6:7], v[88:89]
	v_fmac_f64_e32 v[6:7], v[22:23], v[86:87]
	v_mul_f64 v[22:23], v[18:19], v[104:105]
	v_fma_f64 v[22:23], v[2:3], v[102:103], -v[22:23]
	v_mul_f64 v[86:87], v[2:3], v[104:105]
	v_mul_u32_u24_sdwa v2, v137, s6 dst_sel:DWORD dst_unused:UNUSED_PAD src0_sel:WORD_0 src1_sel:DWORD
	v_lshrrev_b32_e32 v142, 19, v2
	v_mul_lo_u16_e32 v2, 12, v142
	v_sub_u16_e32 v137, v137, v2
	v_lshlrev_b32_e32 v2, 5, v137
	v_fmac_f64_e32 v[86:87], v[18:19], v[102:103]
	global_load_dwordx4 v[102:105], v2, s[4:5] offset:176
	global_load_dwordx4 v[106:109], v2, s[4:5] offset:160
	s_mov_b32 s6, 0xe8584caa
	s_mov_b32 s7, 0x3febb67a
	;; [unrolled: 1-line block ×3, first 2 shown]
	s_waitcnt lgkmcnt(0)
	; wave barrier
	s_waitcnt vmcnt(0) lgkmcnt(0)
	v_mul_f64 v[2:3], v[84:85], v[108:109]
	v_fma_f64 v[18:19], v[80:81], v[106:107], -v[2:3]
	v_mul_f64 v[80:81], v[80:81], v[108:109]
	v_mul_f64 v[2:3], v[48:49], v[104:105]
	v_fmac_f64_e32 v[80:81], v[84:85], v[106:107]
	v_fma_f64 v[84:85], v[68:69], v[102:103], -v[2:3]
	v_add_f64 v[2:3], v[74:75], v[82:83]
	v_add_f64 v[94:95], v[2:3], v[44:45]
	;; [unrolled: 1-line block ×3, first 2 shown]
	v_fmac_f64_e32 v[74:75], -0.5, v[2:3]
	v_add_f64 v[2:3], v[28:29], -v[24:25]
	v_mul_f64 v[68:69], v[68:69], v[104:105]
	v_fma_f64 v[98:99], s[6:7], v[2:3], v[74:75]
	v_fmac_f64_e32 v[74:75], s[8:9], v[2:3]
	v_add_f64 v[2:3], v[72:73], v[40:41]
	v_fmac_f64_e32 v[68:69], v[48:49], v[102:103]
	v_add_f64 v[102:103], v[2:3], v[46:47]
	v_add_f64 v[2:3], v[40:41], v[46:47]
	v_fmac_f64_e32 v[72:73], -0.5, v[2:3]
	v_add_f64 v[2:3], v[30:31], -v[26:27]
	v_fma_f64 v[104:105], s[6:7], v[2:3], v[72:73]
	v_fmac_f64_e32 v[72:73], s[8:9], v[2:3]
	v_add_f64 v[2:3], v[66:67], v[42:43]
	v_add_f64 v[106:107], v[2:3], v[36:37]
	;; [unrolled: 1-line block ×3, first 2 shown]
	v_fmac_f64_e32 v[66:67], -0.5, v[2:3]
	v_add_f64 v[2:3], v[12:13], -v[8:9]
	ds_write2_b64 v91, v[94:95], v[98:99] offset1:12
	ds_write_b64 v91, v[74:75] offset:192
	v_mul_u32_u24_e32 v74, 0x120, v122
	v_lshlrev_b32_sdwa v75, v143, v123 dst_sel:DWORD dst_unused:UNUSED_PAD src0_sel:DWORD src1_sel:BYTE_0
	v_fma_f64 v[108:109], s[6:7], v[2:3], v[66:67]
	v_fmac_f64_e32 v[66:67], s[8:9], v[2:3]
	v_add_f64 v[2:3], v[58:59], v[32:33]
	v_add3_u32 v74, 0, v74, v75
	v_add_f64 v[110:111], v[2:3], v[38:39]
	v_add_f64 v[2:3], v[32:33], v[38:39]
	ds_write2_b64 v74, v[102:103], v[104:105] offset1:12
	ds_write_b64 v74, v[72:73] offset:192
	v_mul_u32_u24_e32 v72, 0x120, v124
	v_lshlrev_b32_sdwa v73, v143, v125 dst_sel:DWORD dst_unused:UNUSED_PAD src0_sel:DWORD src1_sel:BYTE_0
	v_fmac_f64_e32 v[58:59], -0.5, v[2:3]
	v_add_f64 v[2:3], v[14:15], -v[10:11]
	v_add3_u32 v72, 0, v72, v73
	v_fma_f64 v[112:113], s[6:7], v[2:3], v[58:59]
	v_fmac_f64_e32 v[58:59], s[8:9], v[2:3]
	v_add_f64 v[2:3], v[56:57], v[34:35]
	ds_write2_b64 v72, v[106:107], v[108:109] offset1:12
	ds_write_b64 v72, v[66:67] offset:192
	v_mul_u32_u24_e32 v66, 0x120, v126
	v_lshlrev_b32_sdwa v67, v143, v127 dst_sel:DWORD dst_unused:UNUSED_PAD src0_sel:DWORD src1_sel:BYTE_0
	v_add_f64 v[114:115], v[2:3], v[20:21]
	v_add_f64 v[2:3], v[34:35], v[20:21]
	v_add3_u32 v66, 0, v66, v67
	v_fmac_f64_e32 v[56:57], -0.5, v[2:3]
	v_add_f64 v[2:3], v[4:5], -v[0:1]
	ds_write2_b64 v66, v[110:111], v[112:113] offset1:12
	ds_write_b64 v66, v[58:59] offset:192
	v_perm_b32 v58, v129, v93, s13
	v_fma_f64 v[116:117], s[6:7], v[2:3], v[56:57]
	v_fmac_f64_e32 v[56:57], s[8:9], v[2:3]
	v_add_f64 v[2:3], v[54:55], v[16:17]
	v_pk_mul_lo_u16 v59, v58, s12 op_sel_hi:[1,0]
	v_add_f64 v[118:119], v[2:3], v[22:23]
	v_add_f64 v[2:3], v[16:17], v[22:23]
	v_and_b32_e32 v58, 0xffe0, v59
	v_lshlrev_b32_e32 v67, 3, v128
	v_fmac_f64_e32 v[54:55], -0.5, v[2:3]
	v_add_f64 v[2:3], v[6:7], -v[86:87]
	v_add3_u32 v58, 0, v58, v67
	v_fma_f64 v[120:121], s[6:7], v[2:3], v[54:55]
	v_fmac_f64_e32 v[54:55], s[8:9], v[2:3]
	v_add_f64 v[2:3], v[18:19], v[84:85]
	ds_write2_b64 v58, v[114:115], v[116:117] offset1:12
	ds_write_b64 v58, v[56:57] offset:192
	v_lshrrev_b32_e32 v56, 16, v59
	v_lshlrev_b32_e32 v57, 3, v141
	v_fma_f64 v[48:49], -0.5, v[2:3], v[50:51]
	v_add_f64 v[88:89], v[80:81], -v[68:69]
	v_add3_u32 v56, 0, v56, v57
	v_fma_f64 v[2:3], s[8:9], v[88:89], v[48:49]
	ds_write2_b64 v56, v[118:119], v[120:121] offset1:12
	ds_write_b64 v56, v[54:55] offset:192
	v_mul_lo_u16_e32 v54, 36, v142
	v_lshlrev_b32_e32 v55, 3, v137
	s_and_saveexec_b64 s[12:13], s[0:1]
	s_cbranch_execz .LBB0_27
; %bb.26:
	v_mul_f64 v[88:89], v[88:89], s[6:7]
	v_add_f64 v[50:51], v[50:51], v[18:19]
	v_lshlrev_b32_e32 v57, 3, v54
	v_add_f64 v[48:49], v[88:89], v[48:49]
	v_add_f64 v[50:51], v[50:51], v[84:85]
	v_add3_u32 v57, 0, v55, v57
	ds_write2_b64 v57, v[50:51], v[48:49] offset1:12
	ds_write_b64 v57, v[2:3] offset:192
.LBB0_27:
	s_or_b64 exec, exec, s[12:13]
	v_add_f64 v[48:49], v[76:77], v[28:29]
	v_add_f64 v[88:89], v[48:49], v[24:25]
	v_add_f64 v[24:25], v[28:29], v[24:25]
	v_fmac_f64_e32 v[76:77], -0.5, v[24:25]
	v_add_f64 v[24:25], v[82:83], -v[44:45]
	v_fma_f64 v[82:83], s[8:9], v[24:25], v[76:77]
	v_fmac_f64_e32 v[76:77], s[6:7], v[24:25]
	v_add_f64 v[24:25], v[64:65], v[30:31]
	v_add_f64 v[92:93], v[24:25], v[26:27]
	v_add_f64 v[24:25], v[30:31], v[26:27]
	v_fmac_f64_e32 v[64:65], -0.5, v[24:25]
	v_add_f64 v[24:25], v[40:41], -v[46:47]
	v_fma_f64 v[94:95], s[8:9], v[24:25], v[64:65]
	v_fmac_f64_e32 v[64:65], s[6:7], v[24:25]
	;; [unrolled: 7-line block ×6, first 2 shown]
	v_add_f64 v[0:1], v[80:81], v[68:69]
	v_add_u32_e32 v49, 0x1400, v136
	v_add_u32_e32 v98, 0x1c00, v136
	;; [unrolled: 1-line block ×7, first 2 shown]
	v_fma_f64 v[14:15], -0.5, v[0:1], v[52:53]
	v_add_f64 v[46:47], v[18:19], -v[84:85]
	s_waitcnt lgkmcnt(0)
	; wave barrier
	s_waitcnt lgkmcnt(0)
	v_add_u32_e32 v48, v138, v90
	ds_read_b64 v[8:9], v140
	ds_read_b64 v[0:1], v48
	ds_read2_b64 v[40:43], v49 offset0:116 offset1:179
	ds_read2_b64 v[36:39], v98 offset0:112 offset1:175
	;; [unrolled: 1-line block ×7, first 2 shown]
	ds_read_b64 v[44:45], v136
	ds_read_b64 v[12:13], v131
	;; [unrolled: 1-line block ×4, first 2 shown]
	v_fma_f64 v[6:7], s[6:7], v[46:47], v[14:15]
	s_waitcnt lgkmcnt(0)
	; wave barrier
	s_waitcnt lgkmcnt(0)
	ds_write2_b64 v91, v[88:89], v[82:83] offset1:12
	ds_write_b64 v91, v[76:77] offset:192
	ds_write2_b64 v74, v[92:93], v[94:95] offset1:12
	ds_write_b64 v74, v[64:65] offset:192
	;; [unrolled: 2-line block ×6, first 2 shown]
	s_and_saveexec_b64 s[8:9], s[0:1]
	s_cbranch_execz .LBB0_29
; %bb.28:
	v_mul_f64 v[46:47], v[46:47], s[6:7]
	v_add_f64 v[52:53], v[52:53], v[80:81]
	v_add_f64 v[14:15], v[14:15], -v[46:47]
	v_lshlrev_b32_e32 v46, 3, v54
	v_add_f64 v[52:53], v[52:53], v[68:69]
	v_add3_u32 v46, 0, v55, v46
	ds_write2_b64 v46, v[52:53], v[14:15] offset1:12
	ds_write_b64 v46, v[6:7] offset:192
.LBB0_29:
	s_or_b64 exec, exec, s[8:9]
	v_subrev_u32_e32 v14, 36, v132
	v_cmp_gt_u32_e64 s[0:1], 36, v132
	v_mov_b32_e32 v15, 0
	s_waitcnt lgkmcnt(0)
	v_cndmask_b32_e64 v137, v14, v132, s[0:1]
	v_lshlrev_b32_e32 v14, 2, v137
	v_lshl_add_u64 v[14:15], v[14:15], 4, s[4:5]
	; wave barrier
	global_load_dwordx4 v[52:55], v[14:15], off offset:544
	global_load_dwordx4 v[56:59], v[14:15], off offset:560
	;; [unrolled: 1-line block ×4, first 2 shown]
	v_mov_b32_e32 v14, 57
	v_mul_lo_u16_sdwa v46, v134, v14 dst_sel:DWORD dst_unused:UNUSED_PAD src0_sel:BYTE_0 src1_sel:DWORD
	v_lshrrev_b16_e32 v141, 11, v46
	v_mul_lo_u16_e32 v46, 36, v141
	v_mov_b32_e32 v15, 6
	v_sub_u16_e32 v198, v134, v46
	v_mul_lo_u16_sdwa v47, v133, v14 dst_sel:DWORD dst_unused:UNUSED_PAD src0_sel:BYTE_0 src1_sel:DWORD
	v_lshlrev_b32_sdwa v46, v15, v198 dst_sel:DWORD dst_unused:UNUSED_PAD src0_sel:DWORD src1_sel:BYTE_0
	v_lshrrev_b16_e32 v199, 11, v47
	global_load_dwordx4 v[68:71], v46, s[4:5] offset:576
	global_load_dwordx4 v[76:79], v46, s[4:5] offset:544
	;; [unrolled: 1-line block ×4, first 2 shown]
	v_mul_lo_u16_e32 v46, 36, v199
	v_sub_u16_e32 v200, v133, v46
	v_lshlrev_b32_sdwa v46, v15, v200 dst_sel:DWORD dst_unused:UNUSED_PAD src0_sel:DWORD src1_sel:BYTE_0
	global_load_dwordx4 v[142:145], v46, s[4:5] offset:544
	global_load_dwordx4 v[146:149], v46, s[4:5] offset:560
	global_load_dwordx4 v[150:153], v46, s[4:5] offset:576
	v_mul_lo_u16_sdwa v14, v135, v14 dst_sel:DWORD dst_unused:UNUSED_PAD src0_sel:BYTE_0 src1_sel:DWORD
	v_lshrrev_b16_e32 v201, 11, v14
	global_load_dwordx4 v[154:157], v46, s[4:5] offset:592
	v_mul_lo_u16_e32 v14, 36, v201
	v_sub_u16_e32 v135, v135, v14
	v_lshlrev_b32_sdwa v14, v15, v135 dst_sel:DWORD dst_unused:UNUSED_PAD src0_sel:DWORD src1_sel:BYTE_0
	global_load_dwordx4 v[158:161], v14, s[4:5] offset:544
	global_load_dwordx4 v[162:165], v14, s[4:5] offset:560
	;; [unrolled: 1-line block ×4, first 2 shown]
	ds_read_b64 v[14:15], v140
	ds_read_b64 v[46:47], v48
	ds_read2_b64 v[84:87], v49 offset0:116 offset1:179
	ds_read2_b64 v[174:177], v98 offset0:112 offset1:175
	;; [unrolled: 1-line block ×7, first 2 shown]
	s_mov_b32 s8, 0x134454ff
	s_mov_b32 s9, 0x3fee6f0e
	;; [unrolled: 1-line block ×10, first 2 shown]
	v_cmp_lt_u32_e64 s[0:1], 35, v132
	s_waitcnt vmcnt(15) lgkmcnt(8)
	v_mul_f64 v[48:49], v[14:15], v[54:55]
	v_mul_f64 v[90:91], v[8:9], v[54:55]
	v_fma_f64 v[116:117], v[8:9], v[52:53], -v[48:49]
	s_waitcnt vmcnt(14) lgkmcnt(7)
	v_mul_f64 v[8:9], v[46:47], v[58:59]
	v_mul_f64 v[94:95], v[0:1], v[58:59]
	v_fma_f64 v[118:119], v[0:1], v[56:57], -v[8:9]
	s_waitcnt vmcnt(12) lgkmcnt(5)
	v_mul_f64 v[0:1], v[174:175], v[66:67]
	v_fma_f64 v[122:123], v[36:37], v[64:65], -v[0:1]
	v_mul_f64 v[104:105], v[40:41], v[62:63]
	v_fmac_f64_e32 v[90:91], v[14:15], v[52:53]
	v_mul_f64 v[14:15], v[84:85], v[62:63]
	v_fmac_f64_e32 v[104:105], v[84:85], v[60:61]
	s_waitcnt vmcnt(11)
	v_mul_f64 v[0:1], v[86:87], v[70:71]
	v_fma_f64 v[92:93], v[42:43], v[68:69], -v[0:1]
	s_waitcnt vmcnt(10) lgkmcnt(4)
	v_mul_f64 v[0:1], v[178:179], v[78:79]
	v_fma_f64 v[110:111], v[32:33], v[76:77], -v[0:1]
	v_mul_f64 v[74:75], v[42:43], v[70:71]
	s_waitcnt vmcnt(7)
	v_mul_f64 v[0:1], v[180:181], v[144:145]
	v_mul_f64 v[78:79], v[32:33], v[78:79]
	v_fma_f64 v[70:71], v[34:35], v[142:143], -v[0:1]
	s_waitcnt vmcnt(6) lgkmcnt(2)
	v_mul_f64 v[0:1], v[186:187], v[148:149]
	v_fmac_f64_e32 v[78:79], v[178:179], v[76:77]
	v_fma_f64 v[76:77], v[24:25], v[146:147], -v[0:1]
	s_waitcnt vmcnt(5) lgkmcnt(1)
	v_mul_f64 v[0:1], v[190:191], v[152:153]
	v_mul_f64 v[8:9], v[184:185], v[82:83]
	;; [unrolled: 1-line block ×3, first 2 shown]
	v_fma_f64 v[82:83], v[20:21], v[150:151], -v[0:1]
	s_waitcnt vmcnt(4) lgkmcnt(0)
	v_mul_f64 v[0:1], v[194:195], v[156:157]
	v_fma_f64 v[88:89], v[16:17], v[154:155], -v[0:1]
	s_waitcnt vmcnt(3)
	v_mul_f64 v[0:1], v[182:183], v[160:161]
	v_fmac_f64_e32 v[74:75], v[86:87], v[68:69]
	v_fma_f64 v[68:69], v[28:29], v[158:159], -v[0:1]
	s_waitcnt vmcnt(2)
	v_mul_f64 v[0:1], v[188:189], v[164:165]
	v_fma_f64 v[72:73], v[26:27], v[162:163], -v[0:1]
	s_waitcnt vmcnt(1)
	v_mul_f64 v[0:1], v[192:193], v[168:169]
	v_fma_f64 v[112:113], v[30:31], v[80:81], -v[8:9]
	v_fmac_f64_e32 v[84:85], v[184:185], v[80:81]
	v_fma_f64 v[80:81], v[22:23], v[166:167], -v[0:1]
	s_waitcnt vmcnt(0)
	v_mul_f64 v[0:1], v[196:197], v[172:173]
	v_mul_f64 v[62:63], v[22:23], v[168:169]
	v_fma_f64 v[22:23], v[18:19], v[170:171], -v[0:1]
	v_add_f64 v[0:1], v[44:45], v[116:117]
	v_fma_f64 v[120:121], v[40:41], v[60:61], -v[14:15]
	v_add_f64 v[0:1], v[0:1], v[118:119]
	v_mul_f64 v[106:107], v[36:37], v[66:67]
	v_add_f64 v[0:1], v[0:1], v[120:121]
	v_fmac_f64_e32 v[106:107], v[174:175], v[64:65]
	v_mul_f64 v[60:61], v[24:25], v[148:149]
	v_add_f64 v[24:25], v[0:1], v[122:123]
	v_add_f64 v[0:1], v[118:119], v[120:121]
	v_fmac_f64_e32 v[94:95], v[46:47], v[56:57]
	v_mul_f64 v[58:59], v[26:27], v[164:165]
	v_fma_f64 v[26:27], -0.5, v[0:1], v[44:45]
	v_add_f64 v[0:1], v[90:91], -v[106:107]
	v_mul_f64 v[64:65], v[16:17], v[156:157]
	v_mul_f64 v[54:55], v[28:29], v[160:161]
	;; [unrolled: 1-line block ×3, first 2 shown]
	v_fma_f64 v[28:29], s[8:9], v[0:1], v[26:27]
	v_add_f64 v[8:9], v[94:95], -v[104:105]
	v_add_f64 v[16:17], v[116:117], -v[118:119]
	;; [unrolled: 1-line block ×3, first 2 shown]
	v_fmac_f64_e32 v[26:27], s[14:15], v[0:1]
	v_fmac_f64_e32 v[28:29], s[6:7], v[8:9]
	v_add_f64 v[16:17], v[16:17], v[18:19]
	v_fmac_f64_e32 v[26:27], s[18:19], v[8:9]
	v_fmac_f64_e32 v[28:29], s[12:13], v[16:17]
	;; [unrolled: 1-line block ×3, first 2 shown]
	v_add_f64 v[16:17], v[116:117], v[122:123]
	v_fmac_f64_e32 v[44:45], -0.5, v[16:17]
	v_fma_f64 v[30:31], s[14:15], v[8:9], v[44:45]
	v_fmac_f64_e32 v[44:45], s[8:9], v[8:9]
	v_fmac_f64_e32 v[30:31], s[6:7], v[0:1]
	;; [unrolled: 1-line block ×3, first 2 shown]
	v_add_f64 v[0:1], v[12:13], v[110:111]
	v_mul_f64 v[36:37], v[176:177], v[126:127]
	v_add_f64 v[0:1], v[0:1], v[112:113]
	v_mul_f64 v[86:87], v[38:39], v[126:127]
	v_fma_f64 v[114:115], v[38:39], v[124:125], -v[36:37]
	v_add_f64 v[0:1], v[0:1], v[92:93]
	v_fmac_f64_e32 v[86:87], v[176:177], v[124:125]
	v_add_f64 v[16:17], v[118:119], -v[116:117]
	v_add_f64 v[18:19], v[120:121], -v[122:123]
	v_add_f64 v[32:33], v[0:1], v[114:115]
	v_add_f64 v[0:1], v[112:113], v[92:93]
	v_mul_f64 v[56:57], v[34:35], v[144:145]
	v_add_f64 v[16:17], v[16:17], v[18:19]
	v_fma_f64 v[34:35], -0.5, v[0:1], v[12:13]
	v_add_f64 v[0:1], v[78:79], -v[86:87]
	v_fmac_f64_e32 v[30:31], s[12:13], v[16:17]
	v_fmac_f64_e32 v[44:45], s[12:13], v[16:17]
	v_fma_f64 v[36:37], s[8:9], v[0:1], v[34:35]
	v_add_f64 v[8:9], v[84:85], -v[74:75]
	v_add_f64 v[16:17], v[110:111], -v[112:113]
	;; [unrolled: 1-line block ×3, first 2 shown]
	v_fmac_f64_e32 v[34:35], s[14:15], v[0:1]
	v_fmac_f64_e32 v[36:37], s[6:7], v[8:9]
	v_add_f64 v[16:17], v[16:17], v[18:19]
	v_fmac_f64_e32 v[34:35], s[18:19], v[8:9]
	v_fmac_f64_e32 v[36:37], s[12:13], v[16:17]
	;; [unrolled: 1-line block ×3, first 2 shown]
	v_add_f64 v[16:17], v[110:111], v[114:115]
	v_fmac_f64_e32 v[12:13], -0.5, v[16:17]
	v_fma_f64 v[38:39], s[14:15], v[8:9], v[12:13]
	v_fmac_f64_e32 v[12:13], s[8:9], v[8:9]
	v_fmac_f64_e32 v[38:39], s[6:7], v[0:1]
	;; [unrolled: 1-line block ×3, first 2 shown]
	v_add_f64 v[0:1], v[4:5], v[70:71]
	v_add_f64 v[0:1], v[0:1], v[76:77]
	;; [unrolled: 1-line block ×3, first 2 shown]
	v_fmac_f64_e32 v[56:57], v[180:181], v[142:143]
	v_mul_f64 v[20:21], v[20:21], v[152:153]
	v_fmac_f64_e32 v[64:65], v[194:195], v[154:155]
	v_add_f64 v[16:17], v[112:113], -v[110:111]
	v_add_f64 v[18:19], v[92:93], -v[114:115]
	v_add_f64 v[40:41], v[0:1], v[88:89]
	v_add_f64 v[0:1], v[76:77], v[82:83]
	v_fmac_f64_e32 v[60:61], v[186:187], v[146:147]
	v_fmac_f64_e32 v[20:21], v[190:191], v[150:151]
	v_add_f64 v[16:17], v[16:17], v[18:19]
	v_fma_f64 v[102:103], -0.5, v[0:1], v[4:5]
	v_add_f64 v[0:1], v[56:57], -v[64:65]
	v_fmac_f64_e32 v[38:39], s[12:13], v[16:17]
	v_fmac_f64_e32 v[12:13], s[12:13], v[16:17]
	v_fma_f64 v[42:43], s[8:9], v[0:1], v[102:103]
	v_add_f64 v[8:9], v[60:61], -v[20:21]
	v_add_f64 v[16:17], v[70:71], -v[76:77]
	;; [unrolled: 1-line block ×3, first 2 shown]
	v_fmac_f64_e32 v[102:103], s[14:15], v[0:1]
	v_fmac_f64_e32 v[42:43], s[6:7], v[8:9]
	v_add_f64 v[16:17], v[16:17], v[18:19]
	v_fmac_f64_e32 v[102:103], s[18:19], v[8:9]
	v_fmac_f64_e32 v[42:43], s[12:13], v[16:17]
	;; [unrolled: 1-line block ×3, first 2 shown]
	v_add_f64 v[16:17], v[70:71], v[88:89]
	v_fmac_f64_e32 v[4:5], -0.5, v[16:17]
	v_fma_f64 v[46:47], s[14:15], v[8:9], v[4:5]
	v_fmac_f64_e32 v[4:5], s[8:9], v[8:9]
	v_fmac_f64_e32 v[46:47], s[6:7], v[0:1]
	v_fmac_f64_e32 v[4:5], s[18:19], v[0:1]
	v_add_f64 v[0:1], v[10:11], v[68:69]
	v_add_f64 v[16:17], v[76:77], -v[70:71]
	v_add_f64 v[18:19], v[82:83], -v[88:89]
	v_add_f64 v[0:1], v[0:1], v[72:73]
	v_add_f64 v[16:17], v[16:17], v[18:19]
	;; [unrolled: 1-line block ×3, first 2 shown]
	v_fmac_f64_e32 v[54:55], v[182:183], v[158:159]
	v_fmac_f64_e32 v[66:67], v[196:197], v[170:171]
	;; [unrolled: 1-line block ×4, first 2 shown]
	v_add_f64 v[16:17], v[0:1], v[22:23]
	v_add_f64 v[0:1], v[72:73], v[80:81]
	v_fmac_f64_e32 v[58:59], v[188:189], v[162:163]
	v_fmac_f64_e32 v[62:63], v[192:193], v[166:167]
	v_fma_f64 v[0:1], -0.5, v[0:1], v[10:11]
	v_add_f64 v[124:125], v[54:55], -v[66:67]
	v_fma_f64 v[18:19], s[8:9], v[124:125], v[0:1]
	v_add_f64 v[126:127], v[58:59], -v[62:63]
	v_add_f64 v[8:9], v[68:69], -v[72:73]
	;; [unrolled: 1-line block ×3, first 2 shown]
	v_fmac_f64_e32 v[0:1], s[14:15], v[124:125]
	v_fmac_f64_e32 v[18:19], s[6:7], v[126:127]
	v_add_f64 v[8:9], v[8:9], v[128:129]
	v_fmac_f64_e32 v[0:1], s[18:19], v[126:127]
	v_fmac_f64_e32 v[18:19], s[12:13], v[8:9]
	;; [unrolled: 1-line block ×3, first 2 shown]
	v_add_f64 v[8:9], v[68:69], v[22:23]
	v_fmac_f64_e32 v[10:11], -0.5, v[8:9]
	v_fma_f64 v[8:9], s[14:15], v[126:127], v[10:11]
	v_fmac_f64_e32 v[10:11], s[8:9], v[126:127]
	v_fmac_f64_e32 v[8:9], s[6:7], v[124:125]
	;; [unrolled: 1-line block ×3, first 2 shown]
	v_mov_b32_e32 v124, 0x5a0
	v_cndmask_b32_e64 v124, 0, v124, s[0:1]
	v_lshlrev_b32_e32 v125, 3, v137
	v_add3_u32 v124, 0, v124, v125
	ds_read_b64 v[52:53], v136
	ds_read_b64 v[50:51], v131
	;; [unrolled: 1-line block ×4, first 2 shown]
	s_waitcnt lgkmcnt(0)
	; wave barrier
	s_waitcnt lgkmcnt(0)
	ds_write2_b64 v124, v[24:25], v[28:29] offset1:36
	ds_write2_b64 v124, v[30:31], v[44:45] offset0:72 offset1:108
	ds_write_b64 v124, v[26:27] offset:1152
	v_mov_b32_e32 v25, 3
	v_mul_u32_u24_e32 v24, 0x5a0, v141
	v_lshlrev_b32_sdwa v26, v25, v198 dst_sel:DWORD dst_unused:UNUSED_PAD src0_sel:DWORD src1_sel:BYTE_0
	v_add3_u32 v125, 0, v24, v26
	ds_write2_b64 v125, v[32:33], v[36:37] offset1:36
	ds_write2_b64 v125, v[38:39], v[12:13] offset0:72 offset1:108
	ds_write_b64 v125, v[34:35] offset:1152
	v_mul_u32_u24_e32 v12, 0x5a0, v199
	v_lshlrev_b32_sdwa v13, v25, v200 dst_sel:DWORD dst_unused:UNUSED_PAD src0_sel:DWORD src1_sel:BYTE_0
	v_add_f64 v[128:129], v[72:73], -v[68:69]
	v_add_f64 v[138:139], v[80:81], -v[22:23]
	v_add3_u32 v126, 0, v12, v13
	v_add_f64 v[128:129], v[128:129], v[138:139]
	ds_write2_b64 v126, v[40:41], v[42:43] offset1:36
	ds_write2_b64 v126, v[46:47], v[4:5] offset0:72 offset1:108
	ds_write_b64 v126, v[102:103] offset:1152
	v_mul_u32_u24_e32 v4, 0x5a0, v201
	v_lshlrev_b32_sdwa v5, v25, v135 dst_sel:DWORD dst_unused:UNUSED_PAD src0_sel:DWORD src1_sel:BYTE_0
	v_fmac_f64_e32 v[8:9], s[12:13], v[128:129]
	v_fmac_f64_e32 v[10:11], s[12:13], v[128:129]
	v_add3_u32 v127, 0, v4, v5
	v_add_u32_e32 v128, 0x400, v136
	ds_write2_b64 v127, v[16:17], v[18:19] offset1:36
	ds_write2_b64 v127, v[8:9], v[10:11] offset0:72 offset1:108
	ds_write_b64 v127, v[0:1] offset:1152
	s_waitcnt lgkmcnt(0)
	; wave barrier
	s_waitcnt lgkmcnt(0)
	ds_read2_b64 v[24:27], v136 offset1:180
	ds_read2_b64 v[36:39], v128 offset0:115 offset1:232
	ds_read2_b64 v[32:35], v99 offset0:39 offset1:156
	;; [unrolled: 1-line block ×5, first 2 shown]
	ds_read_b64 v[98:99], v131
	ds_read_b64 v[108:109], v136 offset:9144
	v_cmp_gt_u32_e64 s[0:1], 54, v132
	s_and_saveexec_b64 s[20:21], s[0:1]
	s_cbranch_execz .LBB0_31
; %bb.30:
	v_add_u32_e32 v0, 0x800, v136
	ds_read2_b64 v[16:19], v0 offset0:50 offset1:230
	v_add_u32_e32 v0, 0x1400, v136
	ds_read2_b64 v[8:11], v0 offset0:26 offset1:206
	v_add_u32_e32 v0, 0x2000, v136
	ds_read_b64 v[102:103], v130
	ds_read2_b64 v[0:3], v0 offset0:2 offset1:182
.LBB0_31:
	s_or_b64 exec, exec, s[20:21]
	v_add_f64 v[4:5], v[52:53], v[90:91]
	v_add_f64 v[4:5], v[4:5], v[94:95]
	;; [unrolled: 1-line block ×5, first 2 shown]
	v_fma_f64 v[140:141], -0.5, v[4:5], v[52:53]
	v_add_f64 v[4:5], v[116:117], -v[122:123]
	v_fma_f64 v[116:117], s[14:15], v[4:5], v[140:141]
	v_add_f64 v[12:13], v[118:119], -v[120:121]
	v_add_f64 v[118:119], v[90:91], -v[94:95]
	v_add_f64 v[120:121], v[106:107], -v[104:105]
	v_fmac_f64_e32 v[140:141], s[8:9], v[4:5]
	v_fmac_f64_e32 v[116:117], s[18:19], v[12:13]
	v_add_f64 v[118:119], v[118:119], v[120:121]
	v_fmac_f64_e32 v[140:141], s[6:7], v[12:13]
	v_fmac_f64_e32 v[116:117], s[12:13], v[118:119]
	v_fmac_f64_e32 v[140:141], s[12:13], v[118:119]
	v_add_f64 v[118:119], v[90:91], v[106:107]
	v_fmac_f64_e32 v[52:53], -0.5, v[118:119]
	v_fma_f64 v[118:119], s[8:9], v[12:13], v[52:53]
	v_fmac_f64_e32 v[52:53], s[14:15], v[12:13]
	v_fmac_f64_e32 v[118:119], s[18:19], v[4:5]
	v_fmac_f64_e32 v[52:53], s[6:7], v[4:5]
	v_add_f64 v[4:5], v[50:51], v[78:79]
	v_add_f64 v[90:91], v[94:95], -v[90:91]
	v_add_f64 v[94:95], v[104:105], -v[106:107]
	v_add_f64 v[4:5], v[4:5], v[84:85]
	v_add_f64 v[90:91], v[90:91], v[94:95]
	v_add_f64 v[4:5], v[4:5], v[74:75]
	v_fmac_f64_e32 v[118:119], s[12:13], v[90:91]
	v_fmac_f64_e32 v[52:53], s[12:13], v[90:91]
	v_add_f64 v[90:91], v[4:5], v[86:87]
	v_add_f64 v[4:5], v[84:85], v[74:75]
	v_fma_f64 v[94:95], -0.5, v[4:5], v[50:51]
	v_add_f64 v[4:5], v[110:111], -v[114:115]
	v_fma_f64 v[106:107], s[14:15], v[4:5], v[94:95]
	v_add_f64 v[12:13], v[112:113], -v[92:93]
	v_add_f64 v[92:93], v[78:79], -v[84:85]
	v_add_f64 v[104:105], v[86:87], -v[74:75]
	v_fmac_f64_e32 v[94:95], s[8:9], v[4:5]
	v_fmac_f64_e32 v[106:107], s[18:19], v[12:13]
	v_add_f64 v[92:93], v[92:93], v[104:105]
	v_fmac_f64_e32 v[94:95], s[6:7], v[12:13]
	v_fmac_f64_e32 v[106:107], s[12:13], v[92:93]
	v_fmac_f64_e32 v[94:95], s[12:13], v[92:93]
	v_add_f64 v[92:93], v[78:79], v[86:87]
	v_fmac_f64_e32 v[50:51], -0.5, v[92:93]
	v_fma_f64 v[92:93], s[8:9], v[12:13], v[50:51]
	v_fmac_f64_e32 v[50:51], s[14:15], v[12:13]
	v_fmac_f64_e32 v[92:93], s[18:19], v[4:5]
	v_fmac_f64_e32 v[50:51], s[6:7], v[4:5]
	v_add_f64 v[4:5], v[48:49], v[56:57]
	v_add_f64 v[78:79], v[84:85], -v[78:79]
	v_add_f64 v[74:75], v[74:75], -v[86:87]
	v_add_f64 v[4:5], v[4:5], v[60:61]
	v_add_f64 v[74:75], v[78:79], v[74:75]
	v_add_f64 v[4:5], v[4:5], v[20:21]
	v_fmac_f64_e32 v[92:93], s[12:13], v[74:75]
	v_fmac_f64_e32 v[50:51], s[12:13], v[74:75]
	v_add_f64 v[74:75], v[4:5], v[64:65]
	v_add_f64 v[4:5], v[60:61], v[20:21]
	;; [unrolled: 28-line block ×3, first 2 shown]
	v_fma_f64 v[4:5], -0.5, v[4:5], v[14:15]
	v_add_f64 v[56:57], v[68:69], -v[22:23]
	v_fma_f64 v[22:23], s[14:15], v[56:57], v[4:5]
	v_add_f64 v[60:61], v[72:73], -v[80:81]
	v_add_f64 v[12:13], v[54:55], -v[58:59]
	;; [unrolled: 1-line block ×3, first 2 shown]
	v_fmac_f64_e32 v[4:5], s[8:9], v[56:57]
	v_fmac_f64_e32 v[22:23], s[18:19], v[60:61]
	v_add_f64 v[12:13], v[12:13], v[64:65]
	v_fmac_f64_e32 v[4:5], s[6:7], v[60:61]
	v_fmac_f64_e32 v[22:23], s[12:13], v[12:13]
	;; [unrolled: 1-line block ×3, first 2 shown]
	v_add_f64 v[12:13], v[54:55], v[66:67]
	v_fmac_f64_e32 v[14:15], -0.5, v[12:13]
	v_fma_f64 v[12:13], s[8:9], v[60:61], v[14:15]
	v_add_f64 v[54:55], v[58:59], -v[54:55]
	v_add_f64 v[58:59], v[62:63], -v[66:67]
	v_fmac_f64_e32 v[14:15], s[14:15], v[60:61]
	v_fmac_f64_e32 v[12:13], s[18:19], v[56:57]
	v_add_f64 v[54:55], v[54:55], v[58:59]
	v_fmac_f64_e32 v[14:15], s[6:7], v[56:57]
	v_fmac_f64_e32 v[12:13], s[12:13], v[54:55]
	;; [unrolled: 1-line block ×3, first 2 shown]
	s_waitcnt lgkmcnt(0)
	; wave barrier
	s_waitcnt lgkmcnt(0)
	ds_write2_b64 v124, v[138:139], v[116:117] offset1:36
	ds_write2_b64 v124, v[118:119], v[52:53] offset0:72 offset1:108
	ds_write_b64 v124, v[140:141] offset:1152
	ds_write2_b64 v125, v[90:91], v[106:107] offset1:36
	ds_write2_b64 v125, v[92:93], v[50:51] offset0:72 offset1:108
	ds_write_b64 v125, v[94:95] offset:1152
	;; [unrolled: 3-line block ×4, first 2 shown]
	v_add_u32_e32 v52, 0xc00, v136
	s_waitcnt lgkmcnt(0)
	; wave barrier
	s_waitcnt lgkmcnt(0)
	ds_read2_b64 v[48:51], v136 offset1:180
	ds_read2_b64 v[60:63], v128 offset0:115 offset1:232
	ds_read2_b64 v[56:59], v52 offset0:39 offset1:156
	v_add_u32_e32 v52, 0x1000, v136
	v_add_u32_e32 v64, 0x1800, v136
	;; [unrolled: 1-line block ×3, first 2 shown]
	ds_read2_b64 v[52:55], v52 offset0:91 offset1:208
	ds_read2_b64 v[64:67], v64 offset0:15 offset1:132
	;; [unrolled: 1-line block ×3, first 2 shown]
	ds_read_b64 v[112:113], v131
	ds_read_b64 v[114:115], v136 offset:9144
	s_and_saveexec_b64 s[6:7], s[0:1]
	s_cbranch_execz .LBB0_33
; %bb.32:
	v_add_u32_e32 v4, 0x800, v136
	ds_read2_b64 v[20:23], v4 offset0:50 offset1:230
	v_add_u32_e32 v4, 0x1400, v136
	ds_read2_b64 v[12:15], v4 offset0:26 offset1:206
	v_add_u32_e32 v4, 0x2000, v136
	ds_read_b64 v[104:105], v130
	ds_read2_b64 v[4:7], v4 offset0:2 offset1:182
.LBB0_33:
	s_or_b64 exec, exec, s[6:7]
	s_and_saveexec_b64 s[6:7], vcc
	s_cbranch_execz .LBB0_36
; %bb.34:
	v_mul_i32_i24_e32 v106, 6, v134
	v_mov_b32_e32 v107, 0
	v_lshl_add_u64 v[110:111], v[106:107], 4, s[4:5]
	global_load_dwordx4 v[72:75], v[110:111], off offset:2848
	global_load_dwordx4 v[88:91], v[110:111], off offset:2928
	;; [unrolled: 1-line block ×6, first 2 shown]
	v_mul_lo_u32 v106, s3, v96
	v_mul_lo_u32 v97, s2, v97
	v_mad_u64_u32 v[110:111], s[2:3], s2, v96, 0
	v_mul_u32_u24_e32 v96, 6, v132
	v_lshlrev_b32_e32 v96, 4, v96
	global_load_dwordx4 v[116:119], v96, s[4:5] offset:2896
	global_load_dwordx4 v[120:123], v96, s[4:5] offset:2880
	;; [unrolled: 1-line block ×6, first 2 shown]
	v_add3_u32 v111, v111, v97, v106
	s_mov_b32 s14, 0x36b3c0b5
	s_mov_b32 s15, 0x3fac98ee
	;; [unrolled: 1-line block ×21, first 2 shown]
	s_movk_i32 s31, 0xb4
	s_waitcnt vmcnt(11) lgkmcnt(6)
	v_mul_f64 v[96:97], v[60:61], v[74:75]
	s_waitcnt vmcnt(10) lgkmcnt(0)
	v_mul_f64 v[142:143], v[114:115], v[90:91]
	v_mul_f64 v[90:91], v[108:109], v[90:91]
	;; [unrolled: 1-line block ×3, first 2 shown]
	s_waitcnt vmcnt(7)
	v_mul_f64 v[148:149], v[56:57], v[86:87]
	s_waitcnt vmcnt(6)
	v_mul_f64 v[150:151], v[68:69], v[94:95]
	v_mul_f64 v[94:95], v[44:45], v[94:95]
	;; [unrolled: 1-line block ×7, first 2 shown]
	v_fma_f64 v[36:37], v[36:37], v[72:73], -v[96:97]
	v_fma_f64 v[74:75], v[108:109], v[88:89], -v[142:143]
	;; [unrolled: 1-line block ×4, first 2 shown]
	v_fmac_f64_e32 v[90:91], v[114:115], v[88:89]
	v_fmac_f64_e32 v[152:153], v[60:61], v[72:73]
	;; [unrolled: 1-line block ×4, first 2 shown]
	v_fma_f64 v[40:41], v[40:41], v[76:77], -v[144:145]
	v_fma_f64 v[28:29], v[28:29], v[80:81], -v[146:147]
	v_fmac_f64_e32 v[154:155], v[52:53], v[80:81]
	v_fmac_f64_e32 v[78:79], v[64:65], v[76:77]
	v_add_f64 v[52:53], v[36:37], -v[74:75]
	v_add_f64 v[60:61], v[32:33], -v[44:45]
	v_add_f64 v[64:65], v[152:153], v[90:91]
	v_add_f64 v[68:69], v[86:87], v[94:95]
	;; [unrolled: 1-line block ×4, first 2 shown]
	v_add_f64 v[56:57], v[40:41], -v[28:29]
	v_add_f64 v[72:73], v[78:79], v[154:155]
	v_add_f64 v[28:29], v[40:41], v[28:29]
	;; [unrolled: 1-line block ×4, first 2 shown]
	v_add_f64 v[76:77], v[64:65], -v[72:73]
	v_add_f64 v[80:81], v[72:73], -v[68:69]
	v_add_f64 v[72:73], v[72:73], v[74:75]
	v_add_f64 v[74:75], v[28:29], v[82:83]
	v_add_f64 v[84:85], v[36:37], -v[28:29]
	v_mul_f64 v[92:93], v[80:81], s[14:15]
	v_add_f64 v[82:83], v[112:113], v[72:73]
	v_add_f64 v[80:81], v[98:99], v[74:75]
	v_add_f64 v[28:29], v[28:29], -v[32:33]
	v_mov_b64_e32 v[98:99], v[82:83]
	v_mov_b64_e32 v[108:109], v[80:81]
	v_mul_f64 v[28:29], v[28:29], s[14:15]
	v_add_f64 v[40:41], v[52:53], -v[56:57]
	v_add_f64 v[44:45], v[56:57], -v[60:61]
	v_add_f64 v[56:57], v[56:57], v[60:61]
	v_fmac_f64_e32 v[98:99], s[12:13], v[72:73]
	v_fmac_f64_e32 v[108:109], s[12:13], v[74:75]
	v_fma_f64 v[72:73], s[18:19], v[84:85], v[28:29]
	v_add_f64 v[56:57], v[52:53], v[56:57]
	v_mul_f64 v[88:89], v[76:77], s[18:19]
	v_fma_f64 v[76:77], s[18:19], v[76:77], v[92:93]
	v_add_f64 v[114:115], v[72:73], v[108:109]
	v_add_f64 v[72:73], v[78:79], -v[154:155]
	v_add_f64 v[86:87], v[86:87], -v[94:95]
	;; [unrolled: 1-line block ×3, first 2 shown]
	v_mul_f64 v[44:45], v[44:45], s[8:9]
	v_add_f64 v[112:113], v[76:77], v[98:99]
	v_mul_f64 v[76:77], v[84:85], s[18:19]
	v_add_f64 v[84:85], v[152:153], -v[90:91]
	v_add_f64 v[78:79], v[72:73], -v[86:87]
	v_mul_f64 v[60:61], v[52:53], s[22:23]
	v_fma_f64 v[96:97], s[6:7], v[40:41], v[44:45]
	v_add_f64 v[90:91], v[84:85], -v[72:73]
	v_mul_f64 v[94:95], v[78:79], s[8:9]
	v_add_f64 v[72:73], v[72:73], v[86:87]
	v_fma_f64 v[40:41], v[40:41], s[20:21], -v[60:61]
	v_add_f64 v[60:61], v[68:69], -v[64:65]
	v_add_f64 v[32:33], v[32:33], -v[36:37]
	;; [unrolled: 1-line block ×3, first 2 shown]
	v_add_f64 v[144:145], v[84:85], v[72:73]
	v_fma_f64 v[36:37], v[32:33], s[24:25], -v[76:77]
	v_mul_f64 v[76:77], v[68:69], s[22:23]
	v_fma_f64 v[28:29], v[32:33], s[26:27], -v[28:29]
	v_fma_f64 v[32:33], v[68:69], s[22:23], -v[94:95]
	v_fma_f64 v[146:147], v[90:91], s[20:21], -v[76:77]
	v_add_f64 v[28:29], v[28:29], v[108:109]
	v_fmac_f64_e32 v[32:33], s[2:3], v[144:145]
	v_fma_f64 v[64:65], v[60:61], s[24:25], -v[88:89]
	v_add_f64 v[36:37], v[36:37], v[108:109]
	v_fmac_f64_e32 v[146:147], s[2:3], v[144:145]
	v_add_f64 v[84:85], v[32:33], v[28:29]
	v_add_f64 v[88:89], v[28:29], -v[32:33]
	s_waitcnt vmcnt(2)
	v_mul_f64 v[28:29], v[50:51], v[130:131]
	v_fmac_f64_e32 v[40:41], s[2:3], v[56:57]
	v_add_f64 v[64:65], v[64:65], v[98:99]
	v_add_f64 v[76:77], v[36:37], -v[146:147]
	v_fma_f64 v[60:61], v[60:61], s[26:27], -v[92:93]
	v_add_f64 v[92:93], v[146:147], v[36:37]
	v_fma_f64 v[36:37], v[26:27], v[128:129], -v[28:29]
	s_waitcnt vmcnt(1)
	v_mul_f64 v[28:29], v[70:71], v[136:137]
	v_fma_f64 v[142:143], s[6:7], v[90:91], v[94:95]
	v_add_f64 v[78:79], v[40:41], v[64:65]
	v_add_f64 v[94:95], v[64:65], -v[40:41]
	v_fma_f64 v[40:41], v[46:47], v[134:135], -v[28:29]
	v_mul_f64 v[28:29], v[54:55], v[118:119]
	v_mul_f64 v[32:33], v[62:63], v[126:127]
	v_fma_f64 v[44:45], v[52:53], s[22:23], -v[44:45]
	v_fma_f64 v[52:53], v[30:31], v[116:117], -v[28:29]
	v_mul_f64 v[28:29], v[58:59], v[122:123]
	v_fma_f64 v[64:65], v[38:39], v[124:125], -v[32:33]
	s_waitcnt vmcnt(0)
	v_mul_f64 v[32:33], v[66:67], v[140:141]
	v_mul_f64 v[46:47], v[46:47], v[136:137]
	v_fmac_f64_e32 v[96:97], s[2:3], v[56:57]
	v_fmac_f64_e32 v[44:45], s[2:3], v[56:57]
	v_fma_f64 v[56:57], v[34:35], v[120:121], -v[28:29]
	v_fma_f64 v[68:69], v[42:43], v[138:139], -v[32:33]
	v_fmac_f64_e32 v[46:47], v[70:71], v[134:135]
	v_mul_f64 v[70:71], v[26:27], v[130:131]
	v_mul_f64 v[42:43], v[42:43], v[140:141]
	;; [unrolled: 1-line block ×3, first 2 shown]
	v_add_f64 v[28:29], v[52:53], -v[56:57]
	v_add_f64 v[108:109], v[64:65], -v[68:69]
	v_fmac_f64_e32 v[70:71], v[50:51], v[128:129]
	v_fmac_f64_e32 v[42:43], v[66:67], v[138:139]
	;; [unrolled: 1-line block ×3, first 2 shown]
	v_mul_f64 v[34:35], v[34:35], v[122:123]
	v_mul_f64 v[30:31], v[30:31], v[118:119]
	v_add_f64 v[60:61], v[60:61], v[98:99]
	v_add_f64 v[32:33], v[28:29], -v[108:109]
	v_add_f64 v[50:51], v[70:71], v[46:47]
	v_add_f64 v[62:63], v[38:39], v[42:43]
	v_fmac_f64_e32 v[34:35], v[58:59], v[120:121]
	v_fmac_f64_e32 v[30:31], v[54:55], v[116:117]
	v_add_f64 v[74:75], v[96:97], v[112:113]
	v_add_f64 v[86:87], v[60:61], -v[44:45]
	v_add_f64 v[90:91], v[44:45], v[60:61]
	v_add_f64 v[98:99], v[112:113], -v[96:97]
	v_add_f64 v[44:45], v[36:37], -v[40:41]
	v_mul_f64 v[112:113], v[32:33], s[8:9]
	v_add_f64 v[26:27], v[50:51], v[62:63]
	v_add_f64 v[32:33], v[30:31], v[34:35]
	v_fmac_f64_e32 v[142:143], s[2:3], v[144:145]
	v_add_f64 v[60:61], v[44:45], -v[28:29]
	v_add_f64 v[28:29], v[28:29], v[108:109]
	v_add_f64 v[26:27], v[32:33], v[26:27]
	v_add_f64 v[72:73], v[114:115], -v[142:143]
	v_add_f64 v[96:97], v[142:143], v[114:115]
	v_add_f64 v[142:143], v[44:45], v[28:29]
	;; [unrolled: 1-line block ×3, first 2 shown]
	v_mov_b64_e32 v[48:49], v[28:29]
	v_fmac_f64_e32 v[48:49], s[12:13], v[26:27]
	v_add_f64 v[26:27], v[50:51], -v[32:33]
	v_add_f64 v[32:33], v[32:33], -v[62:63]
	v_mul_f64 v[58:59], v[32:33], s[14:15]
	v_mul_f64 v[54:55], v[26:27], s[18:19]
	v_fma_f64 v[26:27], s[18:19], v[26:27], v[58:59]
	v_add_f64 v[40:41], v[36:37], v[40:41]
	v_add_f64 v[64:65], v[64:65], v[68:69]
	;; [unrolled: 1-line block ×7, first 2 shown]
	v_mov_b64_e32 v[24:25], v[26:27]
	v_fmac_f64_e32 v[24:25], s[12:13], v[52:53]
	v_add_f64 v[52:53], v[40:41], -v[36:37]
	v_add_f64 v[36:37], v[36:37], -v[64:65]
	v_mul_f64 v[68:69], v[36:37], s[14:15]
	v_mul_f64 v[56:57], v[52:53], s[18:19]
	v_fma_f64 v[36:37], s[18:19], v[52:53], v[68:69]
	v_add_f64 v[46:47], v[70:71], -v[46:47]
	v_add_f64 v[30:31], v[30:31], -v[34:35]
	;; [unrolled: 1-line block ×5, first 2 shown]
	v_add_f64 v[116:117], v[36:37], v[24:25]
	v_add_f64 v[34:35], v[46:47], -v[30:31]
	v_add_f64 v[36:37], v[30:31], -v[38:39]
	v_add_f64 v[30:31], v[30:31], v[38:39]
	v_add_f64 v[44:45], v[108:109], -v[44:45]
	v_fma_f64 v[40:41], v[62:63], s[24:25], -v[56:57]
	v_add_f64 v[38:39], v[38:39], -v[46:47]
	v_mul_f64 v[42:43], v[36:37], s[8:9]
	v_mul_f64 v[36:37], v[44:45], s[22:23]
	v_add_f64 v[56:57], v[40:41], v[24:25]
	v_mul_f64 v[40:41], v[38:39], s[22:23]
	v_fma_f64 v[114:115], s[6:7], v[60:61], v[112:113]
	v_fma_f64 v[70:71], s[6:7], v[34:35], v[42:43]
	v_add_f64 v[52:53], v[46:47], v[30:31]
	v_fma_f64 v[60:61], v[60:61], s[20:21], -v[36:37]
	v_fma_f64 v[36:37], v[50:51], s[24:25], -v[54:55]
	;; [unrolled: 1-line block ×6, first 2 shown]
	v_add_f64 v[24:25], v[50:51], v[24:25]
	v_fmac_f64_e32 v[42:43], s[2:3], v[52:53]
	v_add_f64 v[38:39], v[42:43], v[24:25]
	v_add_f64 v[42:43], v[24:25], -v[42:43]
	v_lshrrev_b32_e32 v24, 2, v132
	v_mul_hi_u32 v24, v24, s30
	v_lshrrev_b32_e32 v24, 2, v24
	v_fmac_f64_e32 v[46:47], s[2:3], v[52:53]
	v_fma_f64 v[44:45], v[44:45], s[22:23], -v[112:113]
	v_mul_lo_u32 v24, v24, s31
	v_fmac_f64_e32 v[60:61], s[2:3], v[142:143]
	v_add_f64 v[54:55], v[36:37], v[48:49]
	v_add_f64 v[34:35], v[56:57], -v[46:47]
	v_add_f64 v[48:49], v[40:41], v[48:49]
	v_fmac_f64_e32 v[44:45], s[2:3], v[142:143]
	v_add_f64 v[46:47], v[46:47], v[56:57]
	v_sub_u32_e32 v56, v132, v24
	v_add_f64 v[36:37], v[60:61], v[54:55]
	v_add_f64 v[40:41], v[48:49], -v[44:45]
	v_add_f64 v[44:45], v[44:45], v[48:49]
	v_add_f64 v[48:49], v[54:55], -v[60:61]
	v_mad_u64_u32 v[54:55], s[28:29], s16, v56, 0
	v_mov_b32_e32 v24, v55
	v_mad_u64_u32 v[24:25], s[28:29], s17, v56, v[24:25]
	v_mov_b32_e32 v55, v24
	v_lshl_add_u64 v[24:25], v[110:111], 4, s[10:11]
	v_lshl_add_u64 v[24:25], v[100:101], 4, v[24:25]
	;; [unrolled: 1-line block ×3, first 2 shown]
	global_store_dwordx4 v[54:55], v[26:29], off
	v_fmac_f64_e32 v[114:115], s[2:3], v[142:143]
	v_fmac_f64_e32 v[70:71], s[2:3], v[52:53]
	v_add_u32_e32 v29, 0xb4, v56
	v_mad_u64_u32 v[26:27], s[10:11], s16, v29, 0
	v_mov_b32_e32 v28, v27
	v_mad_u64_u32 v[28:29], s[10:11], s17, v29, v[28:29]
	v_mov_b32_e32 v27, v28
	v_add_f64 v[52:53], v[66:67], -v[114:115]
	v_add_f64 v[50:51], v[70:71], v[116:117]
	v_lshl_add_u64 v[26:27], v[26:27], 4, v[24:25]
	v_add_u32_e32 v29, 0x168, v56
	global_store_dwordx4 v[26:27], v[50:53], off
	v_mad_u64_u32 v[26:27], s[10:11], s16, v29, 0
	v_mov_b32_e32 v28, v27
	v_mad_u64_u32 v[28:29], s[10:11], s17, v29, v[28:29]
	v_mov_b32_e32 v27, v28
	v_lshl_add_u64 v[26:27], v[26:27], 4, v[24:25]
	v_add_u32_e32 v29, 0x21c, v56
	global_store_dwordx4 v[26:27], v[46:49], off
	v_mad_u64_u32 v[26:27], s[10:11], s16, v29, 0
	v_mov_b32_e32 v28, v27
	v_mad_u64_u32 v[28:29], s[10:11], s17, v29, v[28:29]
	v_mov_b32_e32 v27, v28
	;; [unrolled: 7-line block ×5, first 2 shown]
	v_add_f64 v[32:33], v[114:115], v[66:67]
	v_add_f64 v[30:31], v[116:117], -v[70:71]
	v_lshl_add_u64 v[26:27], v[26:27], 4, v[24:25]
	global_store_dwordx4 v[26:27], v[30:33], off
	v_add_u32_e32 v26, 63, v132
	v_lshrrev_b32_e32 v27, 2, v26
	v_mul_hi_u32 v27, v27, s30
	v_lshrrev_b32_e32 v27, 2, v27
	v_mul_lo_u32 v28, v27, s31
	v_sub_u32_e32 v26, v26, v28
	s_movk_i32 s10, 0x4ec
	v_mad_u64_u32 v[26:27], s[10:11], v27, s10, v[26:27]
	v_mad_u64_u32 v[28:29], s[10:11], s16, v26, 0
	v_mov_b32_e32 v30, v29
	v_mad_u64_u32 v[30:31], s[10:11], s17, v26, v[30:31]
	v_mov_b32_e32 v29, v30
	v_lshl_add_u64 v[28:29], v[28:29], 4, v[24:25]
	v_add_u32_e32 v27, 0xb4, v26
	global_store_dwordx4 v[28:29], v[80:83], off
	v_mad_u64_u32 v[28:29], s[10:11], s16, v27, 0
	v_mov_b32_e32 v30, v29
	v_mad_u64_u32 v[30:31], s[10:11], s17, v27, v[30:31]
	v_mov_b32_e32 v29, v30
	v_lshl_add_u64 v[28:29], v[28:29], 4, v[24:25]
	v_add_u32_e32 v27, 0x168, v26
	global_store_dwordx4 v[28:29], v[96:99], off
	;; [unrolled: 7-line block ×5, first 2 shown]
	v_mad_u64_u32 v[28:29], s[10:11], s16, v27, 0
	v_mov_b32_e32 v30, v29
	v_mad_u64_u32 v[30:31], s[10:11], s17, v27, v[30:31]
	v_mov_b32_e32 v29, v30
	v_lshl_add_u64 v[28:29], v[28:29], 4, v[24:25]
	global_store_dwordx4 v[28:29], v[76:79], off
	v_add_u32_e32 v29, 0x438, v26
	v_mad_u64_u32 v[26:27], s[10:11], s16, v29, 0
	v_mov_b32_e32 v28, v27
	v_mad_u64_u32 v[28:29], s[10:11], s17, v29, v[28:29]
	v_mov_b32_e32 v27, v28
	v_lshl_add_u64 v[26:27], v[26:27], 4, v[24:25]
	global_store_dwordx4 v[26:27], v[72:75], off
	v_add_u32_e32 v26, 0x7e, v132
	v_cmp_gt_u32_e32 vcc, s31, v26
	s_and_b64 exec, exec, vcc
	s_cbranch_execz .LBB0_36
; %bb.35:
	v_subrev_u32_e32 v27, 54, v132
	v_cndmask_b32_e64 v27, v27, v133, s[0:1]
	v_mul_i32_i24_e32 v106, 6, v27
	v_lshl_add_u64 v[52:53], v[106:107], 4, s[4:5]
	global_load_dwordx4 v[28:31], v[52:53], off offset:2848
	global_load_dwordx4 v[32:35], v[52:53], off offset:2864
	;; [unrolled: 1-line block ×6, first 2 shown]
	s_waitcnt vmcnt(5)
	v_mul_f64 v[52:53], v[20:21], v[30:31]
	v_mul_f64 v[30:31], v[16:17], v[30:31]
	s_waitcnt vmcnt(4)
	v_mul_f64 v[54:55], v[22:23], v[34:35]
	v_mul_f64 v[34:35], v[18:19], v[34:35]
	;; [unrolled: 3-line block ×4, first 2 shown]
	v_mul_f64 v[56:57], v[12:13], v[38:39]
	v_mul_f64 v[38:39], v[8:9], v[38:39]
	v_mul_f64 v[58:59], v[14:15], v[42:43]
	v_mul_f64 v[42:43], v[10:11], v[42:43]
	v_fma_f64 v[16:17], v[16:17], v[28:29], -v[52:53]
	v_fmac_f64_e32 v[30:31], v[20:21], v[28:29]
	v_fma_f64 v[18:19], v[18:19], v[32:33], -v[54:55]
	v_fmac_f64_e32 v[34:35], v[22:23], v[32:33]
	v_fma_f64 v[0:1], v[0:1], v[44:45], -v[60:61]
	v_fmac_f64_e32 v[46:47], v[4:5], v[44:45]
	v_fma_f64 v[2:3], v[2:3], v[48:49], -v[62:63]
	v_fmac_f64_e32 v[50:51], v[6:7], v[48:49]
	v_fma_f64 v[8:9], v[8:9], v[36:37], -v[56:57]
	v_fmac_f64_e32 v[38:39], v[12:13], v[36:37]
	v_fma_f64 v[10:11], v[10:11], v[40:41], -v[58:59]
	v_fmac_f64_e32 v[42:43], v[14:15], v[40:41]
	v_add_f64 v[4:5], v[16:17], v[2:3]
	v_add_f64 v[6:7], v[30:31], v[50:51]
	v_add_f64 v[2:3], v[16:17], -v[2:3]
	v_add_f64 v[14:15], v[18:19], v[0:1]
	v_add_f64 v[16:17], v[34:35], v[46:47]
	v_add_f64 v[12:13], v[30:31], -v[50:51]
	v_add_f64 v[0:1], v[18:19], -v[0:1]
	;; [unrolled: 1-line block ×3, first 2 shown]
	v_add_f64 v[20:21], v[8:9], v[10:11]
	v_add_f64 v[22:23], v[38:39], v[42:43]
	v_add_f64 v[8:9], v[10:11], -v[8:9]
	v_add_f64 v[10:11], v[42:43], -v[38:39]
	v_add_f64 v[28:29], v[14:15], v[4:5]
	v_add_f64 v[30:31], v[16:17], v[6:7]
	v_add_f64 v[32:33], v[14:15], -v[4:5]
	v_add_f64 v[34:35], v[16:17], -v[6:7]
	;; [unrolled: 1-line block ×6, first 2 shown]
	v_add_f64 v[36:37], v[8:9], v[0:1]
	v_add_f64 v[38:39], v[10:11], v[18:19]
	v_add_f64 v[40:41], v[8:9], -v[0:1]
	v_add_f64 v[42:43], v[10:11], -v[18:19]
	;; [unrolled: 1-line block ×4, first 2 shown]
	v_add_f64 v[20:21], v[20:21], v[28:29]
	v_add_f64 v[22:23], v[22:23], v[30:31]
	v_add_f64 v[8:9], v[2:3], -v[8:9]
	v_add_f64 v[10:11], v[12:13], -v[10:11]
	v_add_f64 v[28:29], v[36:37], v[2:3]
	v_add_f64 v[12:13], v[38:39], v[12:13]
	v_mul_f64 v[4:5], v[4:5], s[18:19]
	v_mul_f64 v[6:7], v[6:7], s[18:19]
	v_mul_f64 v[30:31], v[14:15], s[14:15]
	v_mul_f64 v[36:37], v[16:17], s[14:15]
	v_mul_f64 v[38:39], v[40:41], s[8:9]
	v_mul_f64 v[40:41], v[42:43], s[8:9]
	v_mul_f64 v[42:43], v[44:45], s[22:23]
	v_mul_f64 v[46:47], v[18:19], s[22:23]
	v_add_f64 v[0:1], v[102:103], v[20:21]
	v_add_f64 v[2:3], v[104:105], v[22:23]
	v_fma_f64 v[14:15], s[14:15], v[14:15], v[4:5]
	v_fma_f64 v[30:31], v[32:33], s[26:27], -v[30:31]
	v_fma_f64 v[36:37], v[34:35], s[26:27], -v[36:37]
	v_fma_f64 v[4:5], v[32:33], s[24:25], -v[4:5]
	v_fma_f64 v[32:33], v[34:35], s[24:25], -v[6:7]
	v_fmac_f64_e32 v[6:7], s[14:15], v[16:17]
	v_fma_f64 v[34:35], s[6:7], v[8:9], v[38:39]
	v_fma_f64 v[38:39], v[44:45], s[22:23], -v[38:39]
	v_fma_f64 v[16:17], v[18:19], s[22:23], -v[40:41]
	v_fmac_f64_e32 v[40:41], s[6:7], v[10:11]
	v_fma_f64 v[42:43], v[8:9], s[20:21], -v[42:43]
	v_fma_f64 v[44:45], v[10:11], s[20:21], -v[46:47]
	v_mov_b64_e32 v[8:9], v[0:1]
	v_mov_b64_e32 v[10:11], v[2:3]
	v_fmac_f64_e32 v[8:9], s[12:13], v[20:21]
	v_fmac_f64_e32 v[10:11], s[12:13], v[22:23]
	v_add_f64 v[48:49], v[6:7], v[10:11]
	v_add_f64 v[18:19], v[30:31], v[8:9]
	;; [unrolled: 1-line block ×5, first 2 shown]
	v_fmac_f64_e32 v[34:35], s[2:3], v[28:29]
	v_fmac_f64_e32 v[38:39], s[2:3], v[28:29]
	;; [unrolled: 1-line block ×5, first 2 shown]
	v_mad_u64_u32 v[32:33], s[0:1], s16, v26, 0
	v_add_f64 v[46:47], v[14:15], v[8:9]
	v_fmac_f64_e32 v[40:41], s[2:3], v[12:13]
	v_add_f64 v[6:7], v[48:49], -v[34:35]
	v_add_f64 v[8:9], v[44:45], v[22:23]
	v_add_f64 v[10:11], v[30:31], -v[42:43]
	v_add_f64 v[12:13], v[18:19], -v[16:17]
	v_add_f64 v[14:15], v[38:39], v[20:21]
	v_add_f64 v[16:17], v[16:17], v[18:19]
	v_add_f64 v[18:19], v[20:21], -v[38:39]
	v_add_f64 v[20:21], v[22:23], -v[44:45]
	v_add_f64 v[22:23], v[42:43], v[30:31]
	v_add_f64 v[30:31], v[34:35], v[48:49]
	v_mov_b32_e32 v34, v33
	v_mad_u64_u32 v[26:27], s[0:1], s17, v26, v[34:35]
	v_mov_b32_e32 v33, v26
	v_lshl_add_u64 v[26:27], v[32:33], 4, v[24:25]
	global_store_dwordx4 v[26:27], v[0:3], off
	v_add_f64 v[4:5], v[40:41], v[46:47]
	v_add_f64 v[28:29], v[46:47], -v[40:41]
	v_add_u32_e32 v3, 0x132, v132
	v_mad_u64_u32 v[0:1], s[0:1], s16, v3, 0
	v_mov_b32_e32 v2, v1
	v_mad_u64_u32 v[2:3], s[0:1], s17, v3, v[2:3]
	v_mov_b32_e32 v1, v2
	v_lshl_add_u64 v[0:1], v[0:1], 4, v[24:25]
	v_add_u32_e32 v3, 0x1e6, v132
	global_store_dwordx4 v[0:1], v[4:7], off
	v_mad_u64_u32 v[0:1], s[0:1], s16, v3, 0
	v_mov_b32_e32 v2, v1
	v_mad_u64_u32 v[2:3], s[0:1], s17, v3, v[2:3]
	v_mov_b32_e32 v1, v2
	v_lshl_add_u64 v[0:1], v[0:1], 4, v[24:25]
	v_add_u32_e32 v3, 0x29a, v132
	global_store_dwordx4 v[0:1], v[8:11], off
	;; [unrolled: 7-line block ×5, first 2 shown]
	v_mad_u64_u32 v[0:1], s[0:1], s16, v3, 0
	v_mov_b32_e32 v2, v1
	v_mad_u64_u32 v[2:3], s[0:1], s17, v3, v[2:3]
	v_mov_b32_e32 v1, v2
	v_lshl_add_u64 v[0:1], v[0:1], 4, v[24:25]
	global_store_dwordx4 v[0:1], v[28:31], off
.LBB0_36:
	s_endpgm
	.section	.rodata,"a",@progbits
	.p2align	6, 0x0
	.amdhsa_kernel fft_rtc_fwd_len1260_factors_2_2_3_3_5_7_wgs_63_tpt_63_halfLds_dp_op_CI_CI_sbrr_dirReg
		.amdhsa_group_segment_fixed_size 0
		.amdhsa_private_segment_fixed_size 0
		.amdhsa_kernarg_size 104
		.amdhsa_user_sgpr_count 2
		.amdhsa_user_sgpr_dispatch_ptr 0
		.amdhsa_user_sgpr_queue_ptr 0
		.amdhsa_user_sgpr_kernarg_segment_ptr 1
		.amdhsa_user_sgpr_dispatch_id 0
		.amdhsa_user_sgpr_kernarg_preload_length 0
		.amdhsa_user_sgpr_kernarg_preload_offset 0
		.amdhsa_user_sgpr_private_segment_size 0
		.amdhsa_uses_dynamic_stack 0
		.amdhsa_enable_private_segment 0
		.amdhsa_system_sgpr_workgroup_id_x 1
		.amdhsa_system_sgpr_workgroup_id_y 0
		.amdhsa_system_sgpr_workgroup_id_z 0
		.amdhsa_system_sgpr_workgroup_info 0
		.amdhsa_system_vgpr_workitem_id 0
		.amdhsa_next_free_vgpr 202
		.amdhsa_next_free_sgpr 32
		.amdhsa_accum_offset 204
		.amdhsa_reserve_vcc 1
		.amdhsa_float_round_mode_32 0
		.amdhsa_float_round_mode_16_64 0
		.amdhsa_float_denorm_mode_32 3
		.amdhsa_float_denorm_mode_16_64 3
		.amdhsa_dx10_clamp 1
		.amdhsa_ieee_mode 1
		.amdhsa_fp16_overflow 0
		.amdhsa_tg_split 0
		.amdhsa_exception_fp_ieee_invalid_op 0
		.amdhsa_exception_fp_denorm_src 0
		.amdhsa_exception_fp_ieee_div_zero 0
		.amdhsa_exception_fp_ieee_overflow 0
		.amdhsa_exception_fp_ieee_underflow 0
		.amdhsa_exception_fp_ieee_inexact 0
		.amdhsa_exception_int_div_zero 0
	.end_amdhsa_kernel
	.text
.Lfunc_end0:
	.size	fft_rtc_fwd_len1260_factors_2_2_3_3_5_7_wgs_63_tpt_63_halfLds_dp_op_CI_CI_sbrr_dirReg, .Lfunc_end0-fft_rtc_fwd_len1260_factors_2_2_3_3_5_7_wgs_63_tpt_63_halfLds_dp_op_CI_CI_sbrr_dirReg
                                        ; -- End function
	.section	.AMDGPU.csdata,"",@progbits
; Kernel info:
; codeLenInByte = 15948
; NumSgprs: 38
; NumVgprs: 202
; NumAgprs: 0
; TotalNumVgprs: 202
; ScratchSize: 0
; MemoryBound: 1
; FloatMode: 240
; IeeeMode: 1
; LDSByteSize: 0 bytes/workgroup (compile time only)
; SGPRBlocks: 4
; VGPRBlocks: 25
; NumSGPRsForWavesPerEU: 38
; NumVGPRsForWavesPerEU: 202
; AccumOffset: 204
; Occupancy: 2
; WaveLimiterHint : 1
; COMPUTE_PGM_RSRC2:SCRATCH_EN: 0
; COMPUTE_PGM_RSRC2:USER_SGPR: 2
; COMPUTE_PGM_RSRC2:TRAP_HANDLER: 0
; COMPUTE_PGM_RSRC2:TGID_X_EN: 1
; COMPUTE_PGM_RSRC2:TGID_Y_EN: 0
; COMPUTE_PGM_RSRC2:TGID_Z_EN: 0
; COMPUTE_PGM_RSRC2:TIDIG_COMP_CNT: 0
; COMPUTE_PGM_RSRC3_GFX90A:ACCUM_OFFSET: 50
; COMPUTE_PGM_RSRC3_GFX90A:TG_SPLIT: 0
	.text
	.p2alignl 6, 3212836864
	.fill 256, 4, 3212836864
	.type	__hip_cuid_c376f32706c16933,@object ; @__hip_cuid_c376f32706c16933
	.section	.bss,"aw",@nobits
	.globl	__hip_cuid_c376f32706c16933
__hip_cuid_c376f32706c16933:
	.byte	0                               ; 0x0
	.size	__hip_cuid_c376f32706c16933, 1

	.ident	"AMD clang version 19.0.0git (https://github.com/RadeonOpenCompute/llvm-project roc-6.4.0 25133 c7fe45cf4b819c5991fe208aaa96edf142730f1d)"
	.section	".note.GNU-stack","",@progbits
	.addrsig
	.addrsig_sym __hip_cuid_c376f32706c16933
	.amdgpu_metadata
---
amdhsa.kernels:
  - .agpr_count:     0
    .args:
      - .actual_access:  read_only
        .address_space:  global
        .offset:         0
        .size:           8
        .value_kind:     global_buffer
      - .offset:         8
        .size:           8
        .value_kind:     by_value
      - .actual_access:  read_only
        .address_space:  global
        .offset:         16
        .size:           8
        .value_kind:     global_buffer
      - .actual_access:  read_only
        .address_space:  global
        .offset:         24
        .size:           8
        .value_kind:     global_buffer
      - .actual_access:  read_only
        .address_space:  global
        .offset:         32
        .size:           8
        .value_kind:     global_buffer
      - .offset:         40
        .size:           8
        .value_kind:     by_value
      - .actual_access:  read_only
        .address_space:  global
        .offset:         48
        .size:           8
        .value_kind:     global_buffer
      - .actual_access:  read_only
        .address_space:  global
        .offset:         56
        .size:           8
        .value_kind:     global_buffer
      - .offset:         64
        .size:           4
        .value_kind:     by_value
      - .actual_access:  read_only
        .address_space:  global
        .offset:         72
        .size:           8
        .value_kind:     global_buffer
      - .actual_access:  read_only
        .address_space:  global
        .offset:         80
        .size:           8
        .value_kind:     global_buffer
      - .actual_access:  read_only
        .address_space:  global
        .offset:         88
        .size:           8
        .value_kind:     global_buffer
      - .actual_access:  write_only
        .address_space:  global
        .offset:         96
        .size:           8
        .value_kind:     global_buffer
    .group_segment_fixed_size: 0
    .kernarg_segment_align: 8
    .kernarg_segment_size: 104
    .language:       OpenCL C
    .language_version:
      - 2
      - 0
    .max_flat_workgroup_size: 63
    .name:           fft_rtc_fwd_len1260_factors_2_2_3_3_5_7_wgs_63_tpt_63_halfLds_dp_op_CI_CI_sbrr_dirReg
    .private_segment_fixed_size: 0
    .sgpr_count:     38
    .sgpr_spill_count: 0
    .symbol:         fft_rtc_fwd_len1260_factors_2_2_3_3_5_7_wgs_63_tpt_63_halfLds_dp_op_CI_CI_sbrr_dirReg.kd
    .uniform_work_group_size: 1
    .uses_dynamic_stack: false
    .vgpr_count:     202
    .vgpr_spill_count: 0
    .wavefront_size: 64
amdhsa.target:   amdgcn-amd-amdhsa--gfx950
amdhsa.version:
  - 1
  - 2
...

	.end_amdgpu_metadata
